;; amdgpu-corpus repo=zjin-lcf/HeCBench kind=compiled arch=gfx90a opt=O3
	.text
	.amdgcn_target "amdgcn-amd-amdhsa--gfx90a"
	.amdhsa_code_object_version 6
	.p2align	2                               ; -- Begin function _Z12cuda_rys_pbfPKdS0_S0_S0_
	.type	_Z12cuda_rys_pbfPKdS0_S0_S0_,@function
_Z12cuda_rys_pbfPKdS0_S0_S0_:           ; @_Z12cuda_rys_pbfPKdS0_S0_S0_
; %bb.0:
	s_waitcnt vmcnt(0) expcnt(0) lgkmcnt(0)
	s_or_saveexec_b64 s[4:5], -1
	buffer_store_dword v63, off, s[0:3], s32 offset:476 ; 4-byte Folded Spill
	buffer_store_dword v62, off, s[0:3], s32 offset:480 ; 4-byte Folded Spill
	;; [unrolled: 1-line block ×3, first 2 shown]
	s_mov_b64 exec, s[4:5]
	buffer_store_dword v40, off, s[0:3], s32 offset:144 ; 4-byte Folded Spill
	buffer_store_dword v41, off, s[0:3], s32 offset:140 ; 4-byte Folded Spill
	buffer_store_dword v42, off, s[0:3], s32 offset:136 ; 4-byte Folded Spill
	buffer_store_dword v43, off, s[0:3], s32 offset:132 ; 4-byte Folded Spill
	buffer_store_dword v44, off, s[0:3], s32 offset:128 ; 4-byte Folded Spill
	buffer_store_dword v45, off, s[0:3], s32 offset:124 ; 4-byte Folded Spill
	buffer_store_dword v46, off, s[0:3], s32 offset:120 ; 4-byte Folded Spill
	buffer_store_dword v47, off, s[0:3], s32 offset:116 ; 4-byte Folded Spill
	buffer_store_dword v56, off, s[0:3], s32 offset:112 ; 4-byte Folded Spill
	buffer_store_dword v57, off, s[0:3], s32 offset:108 ; 4-byte Folded Spill
	buffer_store_dword v58, off, s[0:3], s32 offset:104 ; 4-byte Folded Spill
	buffer_store_dword v59, off, s[0:3], s32 offset:100 ; 4-byte Folded Spill
	buffer_store_dword v60, off, s[0:3], s32 offset:96 ; 4-byte Folded Spill
	buffer_store_dword a32, off, s[0:3], s32 offset:92 ; 4-byte Folded Spill
	buffer_store_dword a33, off, s[0:3], s32 offset:88 ; 4-byte Folded Spill
	buffer_store_dword a34, off, s[0:3], s32 offset:84 ; 4-byte Folded Spill
	buffer_store_dword a35, off, s[0:3], s32 offset:80 ; 4-byte Folded Spill
	buffer_store_dword a36, off, s[0:3], s32 offset:76 ; 4-byte Folded Spill
	buffer_store_dword a37, off, s[0:3], s32 offset:72 ; 4-byte Folded Spill
	buffer_store_dword a38, off, s[0:3], s32 offset:68 ; 4-byte Folded Spill
	buffer_store_dword a39, off, s[0:3], s32 offset:64 ; 4-byte Folded Spill
	buffer_store_dword a40, off, s[0:3], s32 offset:60 ; 4-byte Folded Spill
	buffer_store_dword a41, off, s[0:3], s32 offset:56 ; 4-byte Folded Spill
	buffer_store_dword a42, off, s[0:3], s32 offset:52 ; 4-byte Folded Spill
	buffer_store_dword a43, off, s[0:3], s32 offset:48 ; 4-byte Folded Spill
	buffer_store_dword a44, off, s[0:3], s32 offset:44 ; 4-byte Folded Spill
	buffer_store_dword a45, off, s[0:3], s32 offset:40 ; 4-byte Folded Spill
	buffer_store_dword a46, off, s[0:3], s32 offset:36 ; 4-byte Folded Spill
	buffer_store_dword a47, off, s[0:3], s32 offset:32 ; 4-byte Folded Spill
	buffer_store_dword a48, off, s[0:3], s32 offset:28 ; 4-byte Folded Spill
	buffer_store_dword a49, off, s[0:3], s32 offset:24 ; 4-byte Folded Spill
	buffer_store_dword a50, off, s[0:3], s32 offset:20 ; 4-byte Folded Spill
	buffer_store_dword a51, off, s[0:3], s32 offset:16 ; 4-byte Folded Spill
	buffer_store_dword a52, off, s[0:3], s32 offset:12 ; 4-byte Folded Spill
	buffer_store_dword a53, off, s[0:3], s32 offset:8 ; 4-byte Folded Spill
	buffer_store_dword a54, off, s[0:3], s32 offset:4 ; 4-byte Folded Spill
	buffer_store_dword a55, off, s[0:3], s32 ; 4-byte Folded Spill
	v_writelane_b32 v63, s34, 0
	v_writelane_b32 v63, s35, 1
	;; [unrolled: 1-line block ×68, first 2 shown]
	flat_load_dwordx4 v[8:11], v[0:1]
	flat_load_dwordx4 v[56:59], v[0:1] offset:16
	flat_load_dwordx4 v[52:55], v[0:1] offset:32
	;; [unrolled: 1-line block ×3, first 2 shown]
	flat_load_dwordx4 a[4:7], v[2:3]
	flat_load_dwordx4 v[32:35], v[2:3] offset:16
                                        ; kill: killed $vgpr0 killed $vgpr1
	flat_load_dwordx4 v[48:51], v[2:3] offset:32
	flat_load_dwordx4 v[36:39], v[2:3] offset:48
	flat_load_dwordx4 v[28:31], v[4:5]
	flat_load_dwordx4 v[24:27], v[4:5] offset:16
	flat_load_dwordx4 v[40:43], v[4:5] offset:32
	;; [unrolled: 1-line block ×3, first 2 shown]
	flat_load_dwordx4 v[16:19], v[6:7]
	flat_load_dwordx4 v[20:23], v[6:7] offset:16
	s_waitcnt vmcnt(0) lgkmcnt(0)
	v_cvt_f32_f64_e32 v44, v[8:9]
	v_cvt_f32_f64_e32 v45, v[10:11]
	flat_load_dwordx4 v[8:11], v[6:7] offset:32
	v_accvgpr_read_b32 v0, a0
	flat_load_dwordx4 v[4:7], v[6:7] offset:48
	v_accvgpr_read_b32 v1, a1
	v_accvgpr_read_b32 v2, a2
	;; [unrolled: 1-line block ×3, first 2 shown]
	v_cvt_f32_f64_e32 v47, v[56:57]
	v_cvt_i32_f64_e32 v56, v[58:59]
	v_cvt_f32_f64_e32 v59, v[0:1]
	v_accvgpr_read_b32 v0, a4
	v_accvgpr_read_b32 v1, a5
	;; [unrolled: 1-line block ×4, first 2 shown]
	v_cvt_i32_f64_e32 v46, v[54:55]
	v_cvt_f32_f64_e32 v57, v[0:1]
	v_cvt_f32_f64_e32 v0, v[2:3]
	v_cvt_i32_f64_e32 v54, v[34:35]
	v_cvt_i32_f64_e32 v34, v[50:51]
	v_cvt_f32_f64_e32 v51, v[36:37]
	v_cvt_f32_f64_e32 v32, v[32:33]
	v_mov_b32_e32 v33, v0
	v_mul_f32_e32 v1, v57, v51
	v_cvt_i32_f64_e32 v60, v[48:49]
	v_add_f32_e32 v49, v59, v51
	v_mul_f32_e32 v2, v33, v51
	v_fmac_f32_e32 v1, v44, v59
	v_cvt_f32_f64_e32 v48, v[24:25]
	v_cvt_i32_f64_e32 v25, v[40:41]
	v_fmac_f32_e32 v2, v45, v59
	v_cvt_f32_f64_e32 v35, v[16:17]
	v_cvt_i32_f64_e32 v53, v[52:53]
	v_cvt_f32_f64_e32 v40, v[12:13]
	v_add_u32_e32 v0, v53, v56
	v_mul_f32_e32 v3, v32, v51
	v_add3_u32 v0, v0, v46, v54
	v_fmac_f32_e32 v3, v47, v59
	v_cvt_i32_f64_e32 v24, v[26:27]
	v_accvgpr_write_b32 a6, v14
	v_add3_u32 v0, v0, v60, v34
	v_cvt_i32_f64_e32 v26, v[42:43]
	v_accvgpr_write_b32 a7, v15
	v_cvt_i32_f64_e32 v15, v[22:23]
	v_add3_u32 v0, v0, v24, v25
	v_add3_u32 v0, v0, v26, v15
	v_accvgpr_write_b32 a0, v24
	v_cvt_f32_f64_e32 v58, v[30:31]
	v_cvt_f32_f64_e32 v28, v[28:29]
	;; [unrolled: 1-line block ×4, first 2 shown]
	v_accvgpr_write_b32 a1, v25
	v_accvgpr_write_b32 a10, v26
	;; [unrolled: 1-line block ×5, first 2 shown]
                                        ; implicit-def: $vgpr21
	s_waitcnt vmcnt(0) lgkmcnt(0)
	v_cvt_i32_f64_e32 v16, v[8:9]
	v_cvt_i32_f64_e32 v17, v[10:11]
	v_accvgpr_write_b32 a9, v7
	v_cvt_f32_f64_e32 v41, v[4:5]
	v_div_scale_f32 v4, s[4:5], v49, v49, v1
	v_accvgpr_write_b32 a8, v6
	v_div_scale_f32 v6, s[4:5], v49, v49, v2
	v_rcp_f32_e32 v8, v4
	v_rcp_f32_e32 v9, v6
	v_div_scale_f32 v5, vcc, v1, v49, v1
	v_fma_f32 v11, -v4, v8, 1.0
	v_fma_f32 v12, -v6, v9, 1.0
	v_fmac_f32_e32 v8, v11, v8
	v_div_scale_f32 v7, s[4:5], v2, v49, v2
	v_fmac_f32_e32 v9, v12, v9
	v_mul_f32_e32 v11, v5, v8
	v_mul_f32_e32 v12, v7, v9
	v_fma_f32 v13, -v4, v11, v5
	v_div_scale_f32 v10, s[6:7], v49, v49, v3
	v_fmac_f32_e32 v11, v13, v8
	v_fma_f32 v13, -v6, v12, v7
	v_fmac_f32_e32 v12, v13, v9
	v_rcp_f32_e32 v13, v10
	v_add3_u32 v24, v0, v16, v17
	v_fma_f32 v0, -v4, v11, v5
	v_fma_f32 v5, -v6, v12, v7
	v_div_fmas_f32 v0, v0, v8, v11
	s_mov_b64 vcc, s[4:5]
	v_fma_f32 v4, -v10, v13, 1.0
	v_div_fixup_f32 v43, v0, v49, v1
	v_div_fmas_f32 v0, v5, v9, v12
	v_div_fixup_f32 v31, v0, v49, v2
	v_fmac_f32_e32 v13, v4, v13
	v_div_scale_f32 v0, vcc, v3, v49, v3
	v_mul_f32_e32 v1, v0, v13
	v_fma_f32 v2, -v10, v1, v0
	v_fmac_f32_e32 v1, v2, v13
	v_mul_f32_e32 v2, v35, v41
	v_add_f32_e32 v50, v40, v41
	v_fmac_f32_e32 v2, v28, v40
	v_div_scale_f32 v4, s[4:5], v50, v50, v2
	v_rcp_f32_e32 v5, v4
	v_fma_f32 v0, -v10, v1, v0
	v_div_fmas_f32 v0, v0, v13, v1
	v_div_fixup_f32 v30, v0, v49, v3
	v_fma_f32 v0, -v4, v5, 1.0
	v_fmac_f32_e32 v5, v0, v5
	v_div_scale_f32 v0, vcc, v2, v50, v2
	v_mul_f32_e32 v1, v0, v5
	v_fma_f32 v3, -v4, v1, v0
	v_fmac_f32_e32 v1, v3, v5
	v_mul_f32_e32 v3, v29, v41
	v_fmac_f32_e32 v3, v58, v40
	v_fma_f32 v0, -v4, v1, v0
	v_div_scale_f32 v4, s[4:5], v50, v50, v3
	v_rcp_f32_e32 v6, v4
	v_div_fmas_f32 v0, v0, v5, v1
	v_div_fixup_f32 v52, v0, v50, v2
	v_mul_f32_e32 v25, v49, v50
	v_fma_f32 v0, -v4, v6, 1.0
	v_fmac_f32_e32 v6, v0, v6
	v_div_scale_f32 v0, vcc, v3, v50, v3
	v_mul_f32_e32 v1, v0, v6
	v_fma_f32 v2, -v4, v1, v0
	v_fmac_f32_e32 v1, v2, v6
	v_mul_f32_e32 v2, v27, v41
	v_fmac_f32_e32 v2, v48, v40
	v_fma_f32 v0, -v4, v1, v0
	v_div_scale_f32 v4, s[4:5], v50, v50, v2
	v_rcp_f32_e32 v5, v4
	v_div_fmas_f32 v0, v0, v6, v1
	v_div_fixup_f32 v42, v0, v50, v3
	v_add_f32_e32 v6, v49, v50
	v_fma_f32 v0, -v4, v5, 1.0
	v_fmac_f32_e32 v5, v0, v5
	v_div_scale_f32 v0, vcc, v2, v50, v2
	v_mul_f32_e32 v1, v0, v5
	v_fma_f32 v3, -v4, v1, v0
	v_fmac_f32_e32 v1, v3, v5
	v_div_scale_f32 v3, s[4:5], v6, v6, v25
	v_fma_f32 v0, -v4, v1, v0
	v_rcp_f32_e32 v4, v3
	v_div_fmas_f32 v0, v0, v5, v1
	v_div_fixup_f32 v55, v0, v50, v2
	v_accvgpr_write_b32 a12, v16
	v_fma_f32 v0, -v3, v4, 1.0
	v_fmac_f32_e32 v4, v0, v4
	v_div_scale_f32 v0, vcc, v25, v6, v25
	v_mul_f32_e32 v1, v0, v4
	v_fma_f32 v2, -v3, v1, v0
	v_fmac_f32_e32 v1, v2, v4
	v_fma_f32 v0, -v3, v1, v0
	v_div_fmas_f32 v0, v0, v4, v1
	v_sub_f32_e32 v1, v31, v42
	v_lshrrev_b32_e32 v2, 31, v24
	v_div_fixup_f32 v26, v0, v6, v25
	v_sub_f32_e32 v0, v43, v52
	v_mul_f32_e32 v1, v1, v1
	v_add_u32_e32 v2, v24, v2
	v_fmac_f32_e32 v1, v0, v0
	v_sub_f32_e32 v0, v30, v55
	v_ashrrev_i32_e32 v2, 1, v2
	v_fmac_f32_e32 v1, v0, v0
	v_accvgpr_write_b32 a13, v17
	v_accvgpr_write_b32 a16, v2
	;; [unrolled: 1-line block ×3, first 2 shown]
	v_mul_f32_e32 v16, v26, v1
	v_cmp_lt_i32_e32 vcc, 5, v24
	s_mov_b64 s[6:7], 0
                                        ; implicit-def: $vgpr0
                                        ; implicit-def: $vgpr4
	buffer_store_dword v0, off, s[0:3], s32 offset:420 ; 4-byte Folded Spill
	s_nop 0
	buffer_store_dword v1, off, s[0:3], s32 offset:424 ; 4-byte Folded Spill
	buffer_store_dword v2, off, s[0:3], s32 offset:428 ; 4-byte Folded Spill
	;; [unrolled: 1-line block ×6, first 2 shown]
	s_and_saveexec_b64 s[4:5], vcc
	s_xor_b64 s[8:9], exec, s[4:5]
                                        ; implicit-def: $vgpr2_vgpr3_vgpr4_vgpr5_vgpr6_vgpr7_vgpr8
                                        ; kill: killed $vgpr2_vgpr3_vgpr4_vgpr5_vgpr6_vgpr7_vgpr8
                                        ; implicit-def: $vgpr2_vgpr3_vgpr4_vgpr5_vgpr6_vgpr7_vgpr8
                                        ; kill: killed $vgpr2_vgpr3_vgpr4_vgpr5_vgpr6_vgpr7_vgpr8
	s_cbranch_execz .LBB0_327
; %bb.1:
	v_accvgpr_read_b32 v0, a16
                                        ; implicit-def: $vgpr4
	v_cmp_lt_i32_e32 vcc, 3, v0
	s_mov_b64 s[12:13], 0
	buffer_store_dword v0, off, s[0:3], s32 offset:420 ; 4-byte Folded Spill
	s_nop 0
	buffer_store_dword v1, off, s[0:3], s32 offset:424 ; 4-byte Folded Spill
	buffer_store_dword v2, off, s[0:3], s32 offset:428 ; 4-byte Folded Spill
	;; [unrolled: 1-line block ×6, first 2 shown]
                                        ; implicit-def: $vgpr21
                                        ; implicit-def: $vgpr0
	s_and_saveexec_b64 s[4:5], vcc
	s_xor_b64 s[10:11], exec, s[4:5]
                                        ; implicit-def: $vgpr2_vgpr3_vgpr4_vgpr5_vgpr6_vgpr7_vgpr8
                                        ; kill: killed $vgpr2_vgpr3_vgpr4_vgpr5_vgpr6_vgpr7_vgpr8
                                        ; implicit-def: $vgpr2_vgpr3_vgpr4_vgpr5_vgpr6_vgpr7_vgpr8
                                        ; kill: killed $vgpr2_vgpr3_vgpr4_vgpr5_vgpr6_vgpr7_vgpr8
	s_cbranch_execz .LBB0_41
; %bb.2:
	v_accvgpr_read_b32 v0, a16
                                        ; implicit-def: $vgpr4
	v_cmp_eq_u32_e32 vcc, 4, v0
	s_mov_b64 s[4:5], 0
	buffer_store_dword v0, off, s[0:3], s32 offset:420 ; 4-byte Folded Spill
	s_nop 0
	buffer_store_dword v1, off, s[0:3], s32 offset:424 ; 4-byte Folded Spill
	buffer_store_dword v2, off, s[0:3], s32 offset:428 ; 4-byte Folded Spill
	;; [unrolled: 1-line block ×6, first 2 shown]
                                        ; implicit-def: $vgpr21
                                        ; implicit-def: $vgpr0
	s_and_saveexec_b64 s[12:13], vcc
                                        ; implicit-def: $vgpr2_vgpr3_vgpr4_vgpr5_vgpr6_vgpr7_vgpr8
                                        ; kill: killed $vgpr2_vgpr3_vgpr4_vgpr5_vgpr6_vgpr7_vgpr8
                                        ; implicit-def: $vgpr2_vgpr3_vgpr4_vgpr5_vgpr6_vgpr7_vgpr8
                                        ; kill: killed $vgpr2_vgpr3_vgpr4_vgpr5_vgpr6_vgpr7_vgpr8
	s_cbranch_execz .LBB0_40
; %bb.3:
	s_mov_b32 s4, 0x34a10fb0
	v_cmp_ngt_f32_e32 vcc, s4, v16
                                        ; implicit-def: $vgpr4_vgpr5
                                        ; implicit-def: $vgpr2_vgpr3
                                        ; implicit-def: $vgpr0
                                        ; implicit-def: $vgpr7
                                        ; implicit-def: $vgpr8_vgpr9
	buffer_store_dword v0, off, s[0:3], s32 offset:392 ; 4-byte Folded Spill
	s_nop 0
	buffer_store_dword v1, off, s[0:3], s32 offset:396 ; 4-byte Folded Spill
	buffer_store_dword v2, off, s[0:3], s32 offset:400 ; 4-byte Folded Spill
	;; [unrolled: 1-line block ×6, first 2 shown]
                                        ; implicit-def: $vgpr21
	s_and_saveexec_b64 s[4:5], vcc
	s_xor_b64 s[14:15], exec, s[4:5]
	s_cbranch_execz .LBB0_37
; %bb.4:
	v_cmp_ngt_f32_e32 vcc, 1.0, v16
                                        ; implicit-def: $vgpr4_vgpr5
                                        ; implicit-def: $vgpr2_vgpr3
                                        ; implicit-def: $vgpr0
                                        ; implicit-def: $vgpr7
                                        ; implicit-def: $vgpr8_vgpr9
	buffer_store_dword v0, off, s[0:3], s32 offset:392 ; 4-byte Folded Spill
	s_nop 0
	buffer_store_dword v1, off, s[0:3], s32 offset:396 ; 4-byte Folded Spill
	buffer_store_dword v2, off, s[0:3], s32 offset:400 ; 4-byte Folded Spill
	buffer_store_dword v3, off, s[0:3], s32 offset:404 ; 4-byte Folded Spill
	buffer_store_dword v4, off, s[0:3], s32 offset:408 ; 4-byte Folded Spill
	buffer_store_dword v5, off, s[0:3], s32 offset:412 ; 4-byte Folded Spill
	buffer_store_dword v6, off, s[0:3], s32 offset:416 ; 4-byte Folded Spill
                                        ; implicit-def: $vgpr21
	s_and_saveexec_b64 s[4:5], vcc
	s_xor_b64 s[16:17], exec, s[4:5]
	s_cbranch_execz .LBB0_34
; %bb.5:
	s_mov_b32 s4, 0x40a00000
	v_cmp_ngt_f32_e32 vcc, s4, v16
                                        ; implicit-def: $vgpr4_vgpr5
                                        ; implicit-def: $vgpr2_vgpr3
                                        ; implicit-def: $vgpr0
                                        ; implicit-def: $vgpr7
                                        ; implicit-def: $vgpr8_vgpr9
	buffer_store_dword v0, off, s[0:3], s32 offset:392 ; 4-byte Folded Spill
	s_nop 0
	buffer_store_dword v1, off, s[0:3], s32 offset:396 ; 4-byte Folded Spill
	buffer_store_dword v2, off, s[0:3], s32 offset:400 ; 4-byte Folded Spill
	buffer_store_dword v3, off, s[0:3], s32 offset:404 ; 4-byte Folded Spill
	buffer_store_dword v4, off, s[0:3], s32 offset:408 ; 4-byte Folded Spill
	buffer_store_dword v5, off, s[0:3], s32 offset:412 ; 4-byte Folded Spill
	buffer_store_dword v6, off, s[0:3], s32 offset:416 ; 4-byte Folded Spill
                                        ; implicit-def: $vgpr21
	s_and_saveexec_b64 s[4:5], vcc
	s_xor_b64 s[18:19], exec, s[4:5]
	s_cbranch_execz .LBB0_31
; %bb.6:
	s_mov_b32 s4, 0x41200000
	v_cmp_ngt_f32_e32 vcc, s4, v16
	;; [unrolled: 20-line block ×6, first 2 shown]
                                        ; implicit-def: $vgpr4_vgpr5
                                        ; implicit-def: $vgpr2_vgpr3
                                        ; implicit-def: $vgpr0
                                        ; implicit-def: $vgpr7
                                        ; implicit-def: $vgpr8_vgpr9
	buffer_store_dword v0, off, s[0:3], s32 offset:392 ; 4-byte Folded Spill
	s_nop 0
	buffer_store_dword v1, off, s[0:3], s32 offset:396 ; 4-byte Folded Spill
	buffer_store_dword v2, off, s[0:3], s32 offset:400 ; 4-byte Folded Spill
	;; [unrolled: 1-line block ×6, first 2 shown]
                                        ; implicit-def: $vgpr21
	s_and_saveexec_b64 s[4:5], vcc
	s_xor_b64 s[28:29], exec, s[4:5]
	s_cbranch_execz .LBB0_16
; %bb.11:
	s_mov_b32 s6, 0x3f490fdb
	v_div_scale_f32 v0, s[4:5], v16, v16, s6
	v_rcp_f32_e32 v1, v0
	v_div_scale_f32 v2, vcc, s6, v16, s6
	s_mov_b32 s4, 0xf800000
	v_fma_f32 v3, -v0, v1, 1.0
	v_fmac_f32_e32 v1, v3, v1
	v_mul_f32_e32 v3, v2, v1
	v_fma_f32 v4, -v0, v3, v2
	v_fmac_f32_e32 v3, v4, v1
	v_fma_f32 v0, -v0, v3, v2
	v_div_fmas_f32 v0, v0, v1, v3
	v_div_fixup_f32 v0, v0, v16, s6
	v_mul_f32_e32 v1, 0x4f800000, v0
	v_cmp_gt_f32_e32 vcc, s4, v0
	v_cndmask_b32_e32 v0, v0, v1, vcc
	v_sqrt_f32_e32 v1, v0
	s_mov_b32 s4, 0x426c0000
	v_cmp_ngt_f32_e64 s[4:5], s4, v16
                                        ; implicit-def: $vgpr4_vgpr5
                                        ; implicit-def: $vgpr7
                                        ; implicit-def: $vgpr8_vgpr9
                                        ; implicit-def: $vgpr21
	v_add_u32_e32 v2, -1, v1
	v_fma_f32 v3, -v2, v1, v0
	v_cmp_ge_f32_e64 s[6:7], 0, v3
	v_add_u32_e32 v3, 1, v1
	v_cndmask_b32_e64 v2, v1, v2, s[6:7]
	v_fma_f32 v1, -v3, v1, v0
	v_cmp_lt_f32_e64 s[6:7], 0, v1
	v_cndmask_b32_e64 v1, v2, v3, s[6:7]
	v_mul_f32_e32 v2, 0x37800000, v1
	v_cndmask_b32_e32 v1, v1, v2, vcc
	v_mov_b32_e32 v2, 0x260
	v_cmp_class_f32_e32 vcc, v0, v2
	v_cndmask_b32_e32 v10, v1, v0, vcc
                                        ; implicit-def: $vgpr2_vgpr3
                                        ; implicit-def: $vgpr0
	buffer_store_dword v0, off, s[0:3], s32 offset:392 ; 4-byte Folded Spill
	s_nop 0
	buffer_store_dword v1, off, s[0:3], s32 offset:396 ; 4-byte Folded Spill
	buffer_store_dword v2, off, s[0:3], s32 offset:400 ; 4-byte Folded Spill
	;; [unrolled: 1-line block ×6, first 2 shown]
	s_and_saveexec_b64 s[6:7], s[4:5]
	s_xor_b64 s[4:5], exec, s[6:7]
	s_cbranch_execz .LBB0_13
; %bb.12:
	v_add_f32_e32 v2, 0xbdf0ce7a, v16
	s_mov_b32 s30, 0x3df0ce7a
	v_div_scale_f32 v0, s[6:7], v2, v2, s30
	v_rcp_f32_e32 v3, v0
	s_mov_b32 s6, 0xbf898b3f
	s_mov_b32 s7, 0xc0458000
	;; [unrolled: 1-line block ×3, first 2 shown]
	v_fma_f32 v1, -v0, v3, 1.0
	v_fmac_f32_e32 v3, v1, v3
	v_div_scale_f32 v1, vcc, s30, v2, s30
	v_mul_f32_e32 v4, v1, v3
	v_fma_f32 v5, -v0, v4, v1
	v_fmac_f32_e32 v4, v5, v3
	v_fma_f32 v5, -v0, v4, v1
	v_pk_add_f32 v[0:1], v[16:17], s[6:7] op_sel_hi:[0,1]
	v_div_scale_f32 v6, s[6:7], v1, v1, s31
	v_rcp_f32_e32 v7, v6
	v_div_fmas_f32 v3, v5, v3, v4
	v_div_fixup_f32 v2, v3, v2, s30
	buffer_store_dword v2, off, s[0:3], s32 offset:392 ; 4-byte Folded Spill
	s_nop 0
	buffer_store_dword v3, off, s[0:3], s32 offset:396 ; 4-byte Folded Spill
	buffer_store_dword v4, off, s[0:3], s32 offset:400 ; 4-byte Folded Spill
	;; [unrolled: 1-line block ×6, first 2 shown]
	s_mov_b32 s30, 0x3f898b3f
	v_mul_f32_e32 v21, 0x3710a439, v10
	v_fma_f32 v2, -v6, v7, 1.0
	v_fmac_f32_e32 v7, v2, v7
	v_div_scale_f32 v2, vcc, s31, v1, s31
	v_mul_f32_e32 v3, v2, v7
	v_fma_f32 v4, -v6, v3, v2
	v_fmac_f32_e32 v3, v4, v7
	v_div_scale_f32 v4, s[6:7], v0, v0, s30
	v_fma_f32 v2, -v6, v3, v2
	v_rcp_f32_e32 v6, v4
	v_div_fmas_f32 v2, v2, v7, v3
	v_div_fixup_f32 v3, v2, v1, s31
	s_mov_b32 s6, 0xc0cd4577
	v_fma_f32 v1, -v4, v6, 1.0
	v_fmac_f32_e32 v6, v1, v6
	v_div_scale_f32 v1, vcc, s30, v0, s30
	v_mul_f32_e32 v2, v1, v6
	v_fma_f32 v5, -v4, v2, v1
	v_fmac_f32_e32 v2, v5, v6
	s_mov_b32 s7, 0xc13cea40
	v_fma_f32 v1, -v4, v2, v1
	v_pk_add_f32 v[4:5], v[16:17], s[6:7] op_sel_hi:[0,1]
	s_mov_b32 s31, 0x413cea40
	v_div_scale_f32 v7, s[6:7], v5, v5, s31
	v_rcp_f32_e32 v8, v7
	v_div_fmas_f32 v1, v1, v6, v2
	v_div_fixup_f32 v2, v1, v0, s30
	s_mov_b32 s30, 0x40cd4577
	v_fma_f32 v0, -v7, v8, 1.0
	v_fmac_f32_e32 v8, v0, v8
	v_div_scale_f32 v0, vcc, s31, v5, s31
	v_mul_f32_e32 v1, v0, v8
	v_fma_f32 v6, -v7, v1, v0
	v_fmac_f32_e32 v1, v6, v8
	v_div_scale_f32 v6, s[6:7], v4, v4, s30
	v_fma_f32 v0, -v7, v1, v0
	v_rcp_f32_e32 v7, v6
	v_div_fmas_f32 v0, v0, v8, v1
	v_div_fixup_f32 v5, v0, v5, s31
	s_mov_b32 s6, 0x3d1c8fe4
	v_fma_f32 v0, -v6, v7, 1.0
	v_fmac_f32_e32 v7, v0, v7
	v_div_scale_f32 v0, vcc, s30, v4, s30
	v_mul_f32_e32 v1, v0, v7
	v_fma_f32 v8, -v6, v1, v0
	v_fmac_f32_e32 v1, v8, v7
	v_fma_f32 v0, -v6, v1, v0
	v_div_fmas_f32 v0, v0, v7, v1
	v_div_fixup_f32 v4, v0, v4, s30
	s_mov_b32 s7, 0x3ac6b947
	v_mov_b32_e32 v0, v10
	v_pk_mul_f32 v[8:9], v[10:11], s[6:7] op_sel_hi:[0,1]
	v_fmac_f32_e32 v0, 0xbe8abc3d, v0
	v_sub_f32_e32 v0, v0, v8
	v_sub_f32_e32 v6, v0, v9
	v_mul_f32_e32 v7, 0x3e8abc3d, v10
	v_fmac_f32_e32 v6, 0xb710a439, v10
                                        ; implicit-def: $vgpr16
                                        ; implicit-def: $vgpr10
.LBB0_13:
	s_andn2_saveexec_b64 s[4:5], s[4:5]
	s_cbranch_execz .LBB0_15
; %bb.14:
	v_mov_b32_e32 v0, 0x40400000
	v_cmp_eq_f32_e32 vcc, 1.0, v16
	v_cndmask_b32_e64 v2, v0, 1.0, vcc
	v_frexp_mant_f32_e32 v0, v16
	s_mov_b32 s6, 0x3f2aaaab
	v_cmp_gt_f32_e32 vcc, s6, v0
	v_cndmask_b32_e64 v1, 1.0, 2.0, vcc
	v_mul_f32_e32 v0, v0, v1
	v_add_f32_e32 v3, 1.0, v0
	v_rcp_f32_e32 v11, v3
	v_add_f32_e32 v1, -1.0, v3
	v_sub_f32_e32 v5, v0, v1
	v_add_f32_e32 v1, -1.0, v0
	v_mul_f32_e32 v12, v1, v11
	v_mul_f32_e32 v4, v3, v12
	v_fma_f32 v6, v12, v3, -v4
	v_fmac_f32_e32 v6, v12, v5
	v_add_f32_e32 v0, v4, v6
	v_sub_f32_e32 v5, v1, v0
	v_pk_add_f32 v[8:9], v[0:1], v[4:5] neg_lo:[0,1] neg_hi:[0,1]
	v_mov_b32_e32 v7, v0
	v_pk_add_f32 v[0:1], v[8:9], v[6:7] neg_lo:[0,1] neg_hi:[0,1]
	v_add_f32_e32 v0, v0, v1
	v_add_f32_e32 v0, v5, v0
	v_mul_f32_e32 v1, v11, v0
	v_add_f32_e32 v0, v12, v1
	v_sub_f32_e32 v3, v0, v12
	v_sub_f32_e32 v3, v1, v3
	v_mul_f32_e32 v1, v0, v0
	v_fma_f32 v5, v0, v0, -v1
	v_add_f32_e32 v4, v3, v3
	v_fmac_f32_e32 v5, v0, v4
	v_add_f32_e32 v4, v1, v5
	v_mov_b32_e32 v6, 0x3e91f4c4
	v_fmac_f32_e32 v6, 0x3e76c4e1, v4
	v_mov_b32_e32 v7, 0x3ecccdef
	v_fmac_f32_e32 v7, v4, v6
	v_sub_f32_e32 v1, v4, v1
	v_sub_f32_e32 v11, v5, v1
	v_mul_f32_e32 v1, v4, v7
	v_fma_f32 v5, v4, v7, -v1
	v_fmac_f32_e32 v5, v11, v7
	v_add_f32_e32 v6, v1, v5
	v_add_f32_e32 v7, 0x3f2aaaaa, v6
	v_sub_f32_e32 v1, v6, v1
	v_sub_f32_e32 v1, v5, v1
	v_add_f32_e32 v5, 0xbf2aaaaa, v7
	v_add_f32_e32 v1, 0x31739010, v1
	v_sub_f32_e32 v5, v6, v5
	v_pk_mul_f32 v[8:9], v[0:1], v[4:5]
	v_fma_f32 v6, v4, v0, -v8
	v_pk_add_f32 v[12:13], v[0:1], v[4:5]
	v_fmac_f32_e32 v6, v4, v3
	v_mov_b32_e32 v9, v13
	v_fmac_f32_e32 v6, v11, v0
	v_pk_add_f32 v[4:5], v[8:9], v[6:7]
	v_sub_f32_e32 v1, v4, v8
	v_sub_f32_e32 v1, v6, v1
	;; [unrolled: 1-line block ×3, first 2 shown]
	v_add_f32_e32 v9, v13, v6
	v_mov_b32_e32 v6, v5
	v_pk_mul_f32 v[6:7], v[4:5], v[6:7]
	v_cvt_f64_f32_e32 v[12:13], v16
	v_frexp_exp_i32_f64_e32 v7, v[12:13]
	v_subbrev_co_u32_e32 v7, vcc, 0, v7, vcc
	v_cvt_f32_i32_e32 v7, v7
	v_fma_f32 v8, v4, v5, -v6
	v_fmac_f32_e32 v8, v4, v9
	s_mov_b32 s6, 0x3f317218
	v_mul_f32_e32 v4, 0x3f317218, v7
	v_fmac_f32_e32 v8, v1, v5
	v_fma_f32 v12, v7, s6, -v4
	v_fmac_f32_e32 v12, 0xb102e308, v7
	v_ldexp_f32 v13, v0, 1
	v_add_f32_e32 v5, v6, v8
	v_pk_add_f32 v[0:1], v[4:5], v[12:13]
	v_mov_b32_e32 v14, v5
	v_mov_b32_e32 v15, v1
	;; [unrolled: 1-line block ×3, first 2 shown]
	v_pk_add_f32 v[6:7], v[14:15], v[6:7] neg_lo:[0,1] neg_hi:[0,1]
	v_mov_b32_e32 v9, v5
	v_ldexp_f32 v3, v3, 1
	v_pk_add_f32 v[6:7], v[8:9], v[6:7] neg_lo:[0,1] neg_hi:[0,1]
	v_add_f32_e32 v3, v3, v6
	v_add_f32_e32 v5, v3, v7
	v_pk_add_f32 v[6:7], v[0:1], v[4:5] neg_lo:[0,1] neg_hi:[0,1]
	v_pk_add_f32 v[8:9], v[0:1], v[4:5]
	v_mov_b32_e32 v14, v6
	v_mov_b32_e32 v15, v9
	;; [unrolled: 1-line block ×3, first 2 shown]
	v_pk_add_f32 v[14:15], v[12:13], v[14:15]
	v_mov_b32_e32 v4, v15
	v_pk_add_f32 v[18:19], v[4:5], v[0:1] neg_lo:[0,1] neg_hi:[0,1]
	v_mov_b32_e32 v3, v18
	v_mov_b32_e32 v14, v9
	;; [unrolled: 1-line block ×4, first 2 shown]
	v_pk_add_f32 v[6:7], v[12:13], v[6:7] neg_lo:[0,1] neg_hi:[0,1]
	v_pk_add_f32 v[20:21], v[8:9], v[2:3] neg_lo:[0,1] neg_hi:[0,1]
	;; [unrolled: 1-line block ×3, first 2 shown]
	v_mov_b32_e32 v12, v5
	v_pk_add_f32 v[0:1], v[12:13], v[0:1] neg_lo:[0,1] neg_hi:[0,1]
	v_mov_b32_e32 v20, v6
	v_pk_add_f32 v[8:9], v[20:21], v[0:1]
	v_mov_b32_e32 v12, v9
	v_pk_add_f32 v[12:13], v[8:9], v[12:13]
	v_pk_add_f32 v[4:5], v[4:5], v[12:13]
	v_mov_b32_e32 v7, v15
	v_mov_b32_e32 v9, v4
	v_pk_add_f32 v[14:15], v[8:9], v[6:7] neg_lo:[0,1] neg_hi:[0,1]
	v_mov_b32_e32 v1, v12
	v_sub_f32_e32 v3, v8, v14
	v_pk_add_f32 v[0:1], v[0:1], v[14:15] neg_lo:[0,1] neg_hi:[0,1]
	v_sub_f32_e32 v3, v6, v3
	v_add_f32_e32 v0, v0, v3
	v_add_f32_e32 v0, v0, v1
	;; [unrolled: 1-line block ×3, first 2 shown]
	v_sub_f32_e32 v3, v1, v4
	v_sub_f32_e32 v0, v0, v3
	v_mul_f32_e32 v3, v2, v1
	v_fma_f32 v1, v2, v1, -v3
	v_fmac_f32_e32 v1, v2, v0
	s_movk_i32 s6, 0x204
	v_add_f32_e32 v0, v3, v1
	v_cmp_class_f32_e64 vcc, v3, s6
	v_sub_f32_e32 v2, v0, v3
	v_cndmask_b32_e32 v0, v0, v3, vcc
	s_mov_b32 s30, 0x42b17218
	v_sub_f32_e32 v1, v1, v2
	v_mov_b32_e32 v2, 0x37000000
	v_cmp_eq_f32_e32 vcc, s30, v0
	v_cndmask_b32_e32 v2, 0, v2, vcc
	v_sub_f32_e32 v3, v0, v2
	s_mov_b32 s31, 0x3fb8aa3b
	v_mul_f32_e32 v4, 0x3fb8aa3b, v3
	v_fma_f32 v5, v3, s31, -v4
	v_rndne_f32_e32 v6, v4
	v_fmac_f32_e32 v5, 0x32a5705f, v3
	v_sub_f32_e32 v4, v4, v6
	v_add_f32_e32 v4, v4, v5
	v_exp_f32_e32 v4, v4
	v_cvt_i32_f32_e32 v5, v6
	s_mov_b32 s7, 0x7f800000
	v_cmp_neq_f32_e64 vcc, |v0|, s7
	s_mov_b32 s7, 0xc2ce8ed0
	v_cndmask_b32_e32 v0, 0, v1, vcc
	v_ldexp_f32 v1, v4, v5
	v_cmp_ngt_f32_e32 vcc, s7, v3
	v_cndmask_b32_e32 v1, 0, v1, vcc
	v_cmp_nlt_f32_e32 vcc, s30, v3
	v_mul_f32_e32 v3, 0xbfb8aa3b, v16
	s_mov_b32 s7, 0xbfb8aa3b
	v_rndne_f32_e32 v4, v3
	v_sub_f32_e32 v5, v3, v4
	v_fma_f32 v3, v16, s7, -v3
	v_fmac_f32_e32 v3, 0xb2a5705f, v16
	v_add_f32_e32 v3, v5, v3
	v_exp_f32_e32 v3, v3
	v_cvt_i32_f32_e32 v4, v4
	v_add_f32_e32 v0, v2, v0
	v_mov_b32_e32 v2, 0x7f800000
	v_cndmask_b32_e32 v1, v2, v1, vcc
	v_fma_f32 v0, v1, v0, v1
	v_cmp_class_f32_e64 vcc, v1, s6
	s_mov_b32 s6, 0x42ce8ed0
	v_cndmask_b32_e32 v0, v0, v1, vcc
	v_ldexp_f32 v1, v3, v4
	v_cmp_nlt_f32_e32 vcc, s6, v16
	s_mov_b32 s6, 0xc2b17218
	v_add_f32_e32 v3, 0xbdf0ce7a, v16
	s_mov_b32 s30, 0x3df0ce7a
	v_cndmask_b32_e32 v1, 0, v1, vcc
	v_cmp_ngt_f32_e32 vcc, s6, v16
	v_div_scale_f32 v4, s[6:7], v3, v3, s30
	v_cndmask_b32_e32 v1, v2, v1, vcc
	v_rcp_f32_e32 v5, v4
	v_mul_f32_e64 v6, v1, |v0|
	v_mov_b32_e32 v1, 0x4004ac4a
	v_fmac_f32_e32 v1, 0xbcc7afde, v16
	v_mov_b32_e32 v2, 0xc281315e
	v_fmac_f32_e32 v2, v16, v1
	;; [unrolled: 2-line block ×3, first 2 shown]
	v_fma_f32 v2, -v4, v5, 1.0
	v_fmac_f32_e32 v5, v2, v5
	v_div_scale_f32 v2, vcc, s30, v3, s30
	v_mul_f32_e32 v7, v2, v5
	v_fma_f32 v8, -v4, v7, v2
	v_fmac_f32_e32 v7, v8, v5
	v_fma_f32 v2, -v4, v7, v2
	v_div_fmas_f32 v2, v2, v5, v7
	v_div_fixup_f32 v2, v2, v3, s30
	v_fmac_f32_e32 v2, v1, v6
	buffer_store_dword v2, off, s[0:3], s32 offset:392 ; 4-byte Folded Spill
	s_nop 0
	buffer_store_dword v3, off, s[0:3], s32 offset:396 ; 4-byte Folded Spill
	buffer_store_dword v4, off, s[0:3], s32 offset:400 ; 4-byte Folded Spill
	;; [unrolled: 1-line block ×6, first 2 shown]
	s_mov_b32 s6, 0xbe6a5aca
	s_mov_b32 s7, 0xbf31eeff
	s_mov_b32 s30, 0xbf898b3f
	v_mov_b32_e32 v4, 0x419a8d79
	v_mov_b32_e32 v5, 0x4266bfe8
	s_mov_b32 s31, 0xc0458000
	v_pk_fma_f32 v[4:5], v[16:17], s[6:7], v[4:5] op_sel_hi:[0,1,1]
	s_mov_b32 s6, 0xc415f195
	v_pk_add_f32 v[2:3], v[16:17], s[30:31] op_sel_hi:[0,1]
	s_mov_b32 s7, 0xc4de2153
	s_mov_b32 s30, 0x40458000
	v_pk_fma_f32 v[4:5], v[16:17], v[4:5], s[6:7] op_sel_hi:[0,1,1]
	v_div_scale_f32 v1, s[6:7], v3, v3, s30
	v_rcp_f32_e32 v7, v1
	s_mov_b32 s6, 0x45ced389
	s_mov_b32 s7, 0x4698a137
	;; [unrolled: 1-line block ×3, first 2 shown]
	v_fma_f32 v8, -v1, v7, 1.0
	v_fmac_f32_e32 v7, v8, v7
	v_div_scale_f32 v8, vcc, s30, v3, s30
	v_mul_f32_e32 v9, v8, v7
	v_fma_f32 v11, -v1, v9, v8
	v_fmac_f32_e32 v9, v11, v7
	v_pk_fma_f32 v[4:5], v[16:17], v[4:5], s[6:7] op_sel_hi:[0,1,1]
	v_fma_f32 v1, -v1, v9, v8
	v_div_scale_f32 v8, s[6:7], v2, v2, s31
	v_rcp_f32_e32 v11, v8
	v_div_fmas_f32 v1, v1, v7, v9
	v_div_fixup_f32 v3, v1, v3, s30
	s_mov_b32 s6, 0xbfca554c
	v_fma_f32 v1, -v8, v11, 1.0
	v_fmac_f32_e32 v11, v1, v11
	v_div_scale_f32 v1, vcc, s31, v2, s31
	v_mul_f32_e32 v7, v1, v11
	v_fma_f32 v9, -v8, v7, v1
	v_fmac_f32_e32 v7, v9, v11
	v_fma_f32 v1, -v8, v7, v1
	v_div_fmas_f32 v1, v1, v11, v7
	v_div_fixup_f32 v2, v1, v2, s31
	s_mov_b32 s7, 0xc055bca2
	s_mov_b32 s30, 0xc0cd4577
	v_mov_b32_e32 v8, 0x42fe1a03
	v_mov_b32_e32 v9, 0x437bd497
	s_mov_b32 s31, 0xc13cea40
	v_pk_fma_f32 v[8:9], v[16:17], s[6:7], v[8:9] op_sel_hi:[0,1,1]
	s_mov_b32 s6, 0xc571adfa
	s_mov_b32 s7, 0xc5ecca48
	v_pk_fma_f32 v[8:9], v[16:17], v[8:9], s[6:7] op_sel_hi:[0,1,1]
	v_pk_fma_f32 v[2:3], v[4:5], v[6:7], v[2:3] op_sel_hi:[1,0,1]
	v_pk_add_f32 v[4:5], v[16:17], s[30:31] op_sel_hi:[0,1]
	s_mov_b32 s30, 0x413cea40
	v_div_scale_f32 v1, s[6:7], v5, v5, s30
	v_rcp_f32_e32 v7, v1
	s_mov_b32 s6, 0x47253e7c
	s_mov_b32 s7, 0x47a08a57
	;; [unrolled: 1-line block ×3, first 2 shown]
	v_fma_f32 v11, -v1, v7, 1.0
	v_fmac_f32_e32 v7, v11, v7
	v_div_scale_f32 v11, vcc, s30, v5, s30
	v_mul_f32_e32 v12, v11, v7
	v_fma_f32 v13, -v1, v12, v11
	v_fmac_f32_e32 v12, v13, v7
	v_pk_fma_f32 v[8:9], v[16:17], v[8:9], s[6:7] op_sel_hi:[0,1,1]
	v_fma_f32 v1, -v1, v12, v11
	v_div_scale_f32 v11, s[6:7], v4, v4, s31
	v_rcp_f32_e32 v13, v11
	v_div_fmas_f32 v1, v1, v7, v12
	v_div_fixup_f32 v5, v1, v5, s30
	v_mul_f32_e64 v0, |v0|, v6
	v_fma_f32 v1, -v11, v13, 1.0
	v_fmac_f32_e32 v13, v1, v13
	v_div_scale_f32 v1, vcc, s31, v4, s31
	v_mul_f32_e32 v7, v1, v13
	v_fma_f32 v12, -v11, v7, v1
	v_fmac_f32_e32 v7, v12, v13
	v_fma_f32 v1, -v11, v7, v1
	v_div_fmas_f32 v1, v1, v13, v7
	v_div_fixup_f32 v4, v1, v4, s31
	v_mov_b32_e32 v1, 0xb4aff1cc
	v_pk_fma_f32 v[4:5], v[8:9], v[6:7], v[4:5] op_sel_hi:[1,0,1]
	v_fmac_f32_e32 v1, 0x3268c1ce, v16
	v_mov_b32_e32 v6, 0x36221549
	v_fmac_f32_e32 v6, v16, v1
	s_mov_b32 s6, 0x3761bbe5
	v_mul_f32_e32 v21, v6, v0
	s_mov_b32 s7, 0x35a5b5f0
	v_mov_b32_e32 v6, 0xb9dbe18f
	v_mov_b32_e32 v7, 0xb814fdf2
	v_pk_fma_f32 v[6:7], v[16:17], s[6:7], v[6:7] op_sel_hi:[0,1,1]
	s_mov_b32 s6, 0x3b7e1663
	s_mov_b32 s7, 0x399f00d6
	;; [unrolled: 1-line block ×3, first 2 shown]
	v_pk_fma_f32 v[6:7], v[16:17], v[6:7], s[6:7] op_sel_hi:[0,1,1]
	s_mov_b32 s31, 0x3ac6b947
	v_pk_mul_f32 v[6:7], v[6:7], v[0:1] op_sel_hi:[1,0]
	v_mov_b32_e32 v1, 0xba34432f
	v_pk_fma_f32 v[8:9], v[10:11], s[30:31], v[6:7] op_sel_hi:[0,1,1]
	v_fmac_f32_e32 v1, 0x37afc644, v16
	v_mov_b32_e32 v6, 0x3bdb224c
	v_fmac_f32_e32 v6, v16, v1
	v_mul_f32_e32 v7, v6, v0
	v_fmac_f32_e32 v7, 0x3e8abc3d, v10
	v_sub_f32_e32 v0, v10, v7
	v_sub_f32_e32 v0, v0, v8
	v_fmac_f32_e32 v21, 0x3710a439, v10
	v_sub_f32_e32 v0, v0, v9
	v_sub_f32_e32 v6, v0, v21
.LBB0_15:
	s_or_b64 exec, exec, s[4:5]
                                        ; implicit-def: $vgpr16
.LBB0_16:
	s_andn2_saveexec_b64 s[6:7], s[28:29]
	s_cbranch_execz .LBB0_18
; %bb.17:
	s_mov_b32 s28, 0x3f490fdb
	v_div_scale_f32 v0, s[4:5], v16, v16, s28
	v_rcp_f32_e32 v1, v0
	v_div_scale_f32 v2, vcc, s28, v16, s28
	s_mov_b32 s4, 0xf800000
	v_fma_f32 v3, -v0, v1, 1.0
	v_fmac_f32_e32 v1, v3, v1
	v_mul_f32_e32 v3, v2, v1
	v_fma_f32 v4, -v0, v3, v2
	v_fmac_f32_e32 v3, v4, v1
	v_fma_f32 v0, -v0, v3, v2
	v_div_fmas_f32 v0, v0, v1, v3
	v_div_fixup_f32 v0, v0, v16, s28
	v_mul_f32_e32 v1, 0x4f800000, v0
	v_cmp_gt_f32_e32 vcc, s4, v0
	v_cndmask_b32_e32 v0, v0, v1, vcc
	v_sqrt_f32_e32 v1, v0
	s_mov_b32 s28, 0x3df0ce7a
	v_add_u32_e32 v2, -1, v1
	v_fma_f32 v3, -v2, v1, v0
	v_cmp_ge_f32_e64 s[4:5], 0, v3
	v_add_u32_e32 v3, 1, v1
	v_cndmask_b32_e64 v2, v1, v2, s[4:5]
	v_fma_f32 v1, -v3, v1, v0
	v_cmp_lt_f32_e64 s[4:5], 0, v1
	v_cndmask_b32_e64 v1, v2, v3, s[4:5]
	v_mul_f32_e32 v2, 0x37800000, v1
	v_cndmask_b32_e32 v1, v1, v2, vcc
	v_mul_f32_e32 v2, 0xbfb8aa3b, v16
	s_mov_b32 s4, 0xbfb8aa3b
	v_rndne_f32_e32 v3, v2
	v_sub_f32_e32 v4, v2, v3
	v_fma_f32 v2, v16, s4, -v2
	v_fmac_f32_e32 v2, 0xb2a5705f, v16
	v_add_f32_e32 v2, v4, v2
	v_exp_f32_e32 v2, v2
	v_cvt_i32_f32_e32 v3, v3
	v_mov_b32_e32 v4, 0x260
	v_cmp_class_f32_e32 vcc, v0, v4
	s_mov_b32 s4, 0x42ce8ed0
	v_cndmask_b32_e32 v6, v1, v0, vcc
	v_ldexp_f32 v0, v2, v3
	v_cmp_nlt_f32_e32 vcc, s4, v16
	s_mov_b32 s4, 0xc2b17218
	v_cndmask_b32_e32 v0, 0, v0, vcc
	v_mov_b32_e32 v1, 0x7f800000
	v_cmp_ngt_f32_e32 vcc, s4, v16
	v_cndmask_b32_e32 v10, v1, v0, vcc
	v_mov_b32_e32 v0, 0x38fb7e46
	v_fmac_f32_e32 v0, 0xb5e8af67, v16
	v_mov_b32_e32 v1, 0xbc829c7e
	v_fmac_f32_e32 v1, v16, v0
	v_mov_b32_e32 v0, 0x3f913d29
	v_add_f32_e32 v2, 0xbdf0ce7a, v16
	v_fmac_f32_e32 v0, v16, v1
	v_mov_b32_e32 v1, 0xc232e2f7
	v_div_scale_f32 v3, s[4:5], v2, v2, s28
	v_fmac_f32_e32 v1, v16, v0
	v_mov_b32_e32 v0, 0x4484d064
	v_rcp_f32_e32 v4, v3
	v_fmac_f32_e32 v0, v16, v1
	v_mov_b32_e32 v1, 0xc66d9d91
	v_fmac_f32_e32 v1, v16, v0
	v_mov_b32_e32 v0, 0x47ebab72
	;; [unrolled: 2-line block ×3, first 2 shown]
	v_fmac_f32_e32 v1, v16, v0
	v_fma_f32 v0, -v3, v4, 1.0
	v_fmac_f32_e32 v4, v0, v4
	v_div_scale_f32 v0, vcc, s28, v2, s28
	v_mul_f32_e32 v5, v0, v4
	v_fma_f32 v7, -v3, v5, v0
	v_fmac_f32_e32 v5, v7, v4
	v_fma_f32 v0, -v3, v5, v0
	v_div_fmas_f32 v0, v0, v4, v5
	v_div_fixup_f32 v0, v0, v2, s28
	v_fmac_f32_e32 v0, v10, v1
	buffer_store_dword v0, off, s[0:3], s32 offset:392 ; 4-byte Folded Spill
	s_nop 0
	buffer_store_dword v1, off, s[0:3], s32 offset:396 ; 4-byte Folded Spill
	buffer_store_dword v2, off, s[0:3], s32 offset:400 ; 4-byte Folded Spill
	;; [unrolled: 1-line block ×6, first 2 shown]
	s_mov_b32 s4, 0xb7864dc2
	s_mov_b32 s5, 0xb83c4620
	v_mov_b32_e32 v0, 0x3a909d07
	v_mov_b32_e32 v1, 0x3b304eed
	v_pk_fma_f32 v[0:1], v[16:17], s[4:5], v[0:1] op_sel_hi:[0,1,1]
	s_mov_b32 s4, 0xbe19a50c
	s_mov_b32 s5, 0xbecd562e
	v_pk_fma_f32 v[0:1], v[16:17], v[0:1], s[4:5] op_sel_hi:[0,1,1]
	s_mov_b32 s4, 0x4128e6de
	s_mov_b32 s5, 0x41deb022
	;; [unrolled: 3-line block ×5, first 2 shown]
	s_mov_b32 s5, 0xc89c0214
	s_mov_b32 s29, 0xc0458000
	v_pk_fma_f32 v[0:1], v[16:17], v[0:1], s[4:5] op_sel_hi:[0,1,1]
	s_mov_b32 s4, 0x4981869e
	v_pk_add_f32 v[2:3], v[16:17], s[28:29] op_sel_hi:[0,1]
	s_mov_b32 s5, 0x4a0f5bf4
	s_mov_b32 s28, 0x40458000
	v_pk_fma_f32 v[0:1], v[16:17], v[0:1], s[4:5] op_sel_hi:[0,1,1]
	v_div_scale_f32 v4, s[4:5], v3, v3, s28
	v_rcp_f32_e32 v5, v4
	s_mov_b32 s4, 0xca565990
	s_mov_b32 s5, 0xcada9c2f
	;; [unrolled: 1-line block ×3, first 2 shown]
	v_fma_f32 v7, -v4, v5, 1.0
	v_fmac_f32_e32 v5, v7, v5
	v_div_scale_f32 v7, vcc, s28, v3, s28
	v_mul_f32_e32 v8, v7, v5
	v_fma_f32 v9, -v4, v8, v7
	v_fmac_f32_e32 v8, v9, v5
	v_pk_fma_f32 v[0:1], v[16:17], v[0:1], s[4:5] op_sel_hi:[0,1,1]
	v_fma_f32 v4, -v4, v8, v7
	v_div_scale_f32 v7, s[4:5], v2, v2, s29
	v_rcp_f32_e32 v9, v7
	v_div_fmas_f32 v4, v4, v5, v8
	v_div_fixup_f32 v3, v4, v3, s28
	s_mov_b32 s4, 0xb885e8a0
	v_fma_f32 v4, -v7, v9, 1.0
	v_fmac_f32_e32 v9, v4, v9
	v_div_scale_f32 v4, vcc, s29, v2, s29
	v_mul_f32_e32 v5, v4, v9
	v_fma_f32 v8, -v7, v5, v4
	v_fmac_f32_e32 v5, v8, v9
	v_fma_f32 v4, -v7, v5, v4
	v_div_fmas_f32 v4, v4, v9, v5
	v_div_fixup_f32 v2, v4, v2, s29
	v_pk_fma_f32 v[2:3], v[10:11], v[0:1], v[2:3] op_sel_hi:[0,1,1]
	s_mov_b32 s5, 0xb81698a2
	v_mov_b32_e32 v0, 0xbb16400c
	v_mov_b32_e32 v1, 0xbcb91c15
	v_pk_fma_f32 v[0:1], v[16:17], s[4:5], v[0:1] op_sel_hi:[0,1,1]
	s_mov_b32 s4, 0xbd9cd29e
	s_mov_b32 s5, 0x3f901f16
	v_pk_fma_f32 v[0:1], v[16:17], v[0:1], s[4:5] op_sel_hi:[0,1,1]
	s_mov_b32 s4, 0x411207e1
	s_mov_b32 s5, 0xc236b374
	;; [unrolled: 3-line block ×5, first 2 shown]
	s_mov_b32 s5, 0xc71f19c3
	s_mov_b32 s29, 0xc13cea40
	v_pk_fma_f32 v[0:1], v[16:17], v[0:1], s[4:5] op_sel_hi:[0,1,1]
	s_mov_b32 s4, 0xc9d8d82d
	v_pk_add_f32 v[4:5], v[16:17], s[28:29] op_sel_hi:[0,1]
	s_mov_b32 s5, 0x4a07a12d
	s_mov_b32 s28, 0x413cea40
	v_pk_fma_f32 v[0:1], v[16:17], v[0:1], s[4:5] op_sel_hi:[0,1,1]
	v_div_scale_f32 v7, s[4:5], v5, v5, s28
	v_rcp_f32_e32 v8, v7
	s_mov_b32 s4, 0x4b1c6310
	s_mov_b32 s5, 0xcb75f75e
	;; [unrolled: 1-line block ×3, first 2 shown]
	v_fma_f32 v9, -v7, v8, 1.0
	v_fmac_f32_e32 v8, v9, v8
	v_div_scale_f32 v9, vcc, s28, v5, s28
	v_mul_f32_e32 v11, v9, v8
	v_fma_f32 v12, -v7, v11, v9
	v_fmac_f32_e32 v11, v12, v8
	v_pk_fma_f32 v[0:1], v[16:17], v[0:1], s[4:5] op_sel_hi:[0,1,1]
	v_fma_f32 v7, -v7, v11, v9
	v_div_scale_f32 v9, s[4:5], v4, v4, s29
	v_rcp_f32_e32 v12, v9
	v_div_fmas_f32 v7, v7, v8, v11
	v_div_fixup_f32 v5, v7, v5, s28
	s_mov_b32 s4, 0xbacaf300
	v_fma_f32 v7, -v9, v12, 1.0
	v_fmac_f32_e32 v12, v7, v12
	v_div_scale_f32 v7, vcc, s29, v4, s29
	v_mul_f32_e32 v8, v7, v12
	v_fma_f32 v11, -v9, v8, v7
	v_fmac_f32_e32 v8, v11, v12
	v_fma_f32 v7, -v9, v8, v7
	v_div_fmas_f32 v7, v7, v12, v8
	v_div_fixup_f32 v4, v7, v4, s29
	v_pk_fma_f32 v[4:5], v[10:11], v[0:1], v[4:5] op_sel_hi:[0,1,1]
	v_mov_b32_e32 v0, 0x34199ec3
	v_fmac_f32_e32 v0, 0xaffd7e2f, v16
	v_mov_b32_e32 v1, 0xb7898a57
	v_fmac_f32_e32 v1, v16, v0
	;; [unrolled: 2-line block ×9, first 2 shown]
	v_mov_b32_e32 v1, 0x370855d6
	v_mul_f32_e32 v21, v10, v0
	v_fmac_f32_e32 v1, 0xb2ced85b, v16
	v_mov_b32_e32 v0, 0x3799fe51
	s_mov_b32 s5, 0xba6d1b64
	v_pk_fma_f32 v[0:1], v[16:17], v[0:1], s[4:5] op_sel_hi:[0,1,1]
	s_mov_b32 s4, 0x3df2bada
	s_mov_b32 s5, 0x3d829922
	v_pk_fma_f32 v[0:1], v[16:17], v[0:1], s[4:5] op_sel_hi:[0,1,1]
	s_mov_b32 s4, 0xc0d649ba
	;; [unrolled: 3-line block ×8, first 2 shown]
	v_pk_mul_f32 v[0:1], v[10:11], v[0:1] op_sel_hi:[0,1]
	s_mov_b32 s5, 0x3ac6b947
	v_pk_fma_f32 v[8:9], v[6:7], s[4:5], v[0:1] op_sel_hi:[0,1,1]
	v_mov_b32_e32 v0, 0xbb120983
	v_fmac_f32_e32 v0, 0x37e90472, v16
	v_mov_b32_e32 v1, 0x3e24f189
	v_fmac_f32_e32 v1, v16, v0
	;; [unrolled: 2-line block ×8, first 2 shown]
	v_mul_f32_e32 v7, v10, v1
	v_fmac_f32_e32 v21, 0x3710a439, v6
	v_fmac_f32_e32 v7, 0x3e8abc3d, v6
	;; [unrolled: 1-line block ×3, first 2 shown]
	v_sub_f32_e32 v0, v6, v7
	v_sub_f32_e32 v0, v0, v8
	;; [unrolled: 1-line block ×4, first 2 shown]
.LBB0_18:
	s_or_b64 exec, exec, s[6:7]
                                        ; implicit-def: $vgpr16
.LBB0_19:
	s_andn2_saveexec_b64 s[4:5], s[26:27]
	s_cbranch_execz .LBB0_21
; %bb.20:
	v_add_f32_e32 v10, 0xc1b40000, v16
	v_mov_b32_e32 v0, 0x280532ff
	v_fmac_f32_e32 v0, 0xa6a42ff5, v10
	v_mov_b32_e32 v1, 0x2a22cd9f
	v_fmac_f32_e32 v1, v10, v0
	;; [unrolled: 2-line block ×9, first 2 shown]
	v_mov_b32_e32 v2, 0x3babec00
	s_mov_b32 s6, 0x25a7199c
	v_fmac_f32_e32 v2, v10, v0
	s_mov_b32 s7, 0x270e00c0
	v_mov_b32_e32 v0, 0xa85c4f36
	v_mov_b32_e32 v1, 0xa95c6a33
	v_pk_fma_f32 v[0:1], v[10:11], s[6:7], v[0:1] op_sel_hi:[0,1,1]
	s_mov_b32 s6, 0x298b40b5
	s_mov_b32 s7, 0x29ffe8d7
	v_pk_fma_f32 v[0:1], v[10:11], v[0:1], s[6:7] op_sel_hi:[0,1,1]
	s_mov_b32 s6, 0x2be831fd
	s_mov_b32 s7, 0x2d04c115
	;; [unrolled: 3-line block ×9, first 2 shown]
	v_pk_fma_f32 v[0:1], v[10:11], v[0:1], s[6:7] op_sel_hi:[0,1,1]
	s_mov_b32 s6, 0x3d4d256d
	buffer_store_dword v2, off, s[0:3], s32 offset:392 ; 4-byte Folded Spill
	s_nop 0
	buffer_store_dword v3, off, s[0:3], s32 offset:396 ; 4-byte Folded Spill
	buffer_store_dword v4, off, s[0:3], s32 offset:400 ; 4-byte Folded Spill
	;; [unrolled: 1-line block ×6, first 2 shown]
	s_mov_b32 s7, 0x3e227f7e
	v_pk_fma_f32 v[2:3], v[10:11], v[0:1], s[6:7] op_sel_hi:[0,1,1]
	v_mov_b32_e32 v0, 0xaa2f78e1
	v_fmac_f32_e32 v0, 0x2870bf87, v10
	v_mov_b32_e32 v1, 0xab53bedb
	v_fmac_f32_e32 v1, v10, v0
	;; [unrolled: 2-line block ×10, first 2 shown]
	s_mov_b32 s6, 0x31fb9e34
	v_mul_f32_e32 v0, v10, v0
	v_mul_f32_e32 v1, v10, v1
	s_mov_b32 s7, 0xb58f5e3a
	v_pk_add_f32 v[0:1], v[0:1], s[6:7]
	s_mov_b32 s6, 0x35f880c4
	s_mov_b32 s7, 0x380a161b
	v_pk_fma_f32 v[0:1], v[10:11], v[0:1], s[6:7] op_sel_hi:[0,1,1]
	s_mov_b32 s6, 0xb885b2da
	s_mov_b32 s7, 0xba1becb6
	v_pk_fma_f32 v[0:1], v[10:11], v[0:1], s[6:7] op_sel_hi:[0,1,1]
	;; [unrolled: 3-line block ×5, first 2 shown]
	v_mov_b32_e32 v0, 0x29e22b1a
	v_fmac_f32_e32 v0, 0xa823fdf6, v10
	v_mov_b32_e32 v1, 0x2b5c09f0
	v_fmac_f32_e32 v1, v10, v0
	;; [unrolled: 2-line block ×9, first 2 shown]
	v_mov_b32_e32 v1, 0xb1c33365
	s_mov_b32 s6, 0x321e1132
	v_fmac_f32_e32 v1, v10, v6
	s_mov_b32 s7, 0x34038277
	v_pk_fma_f32 v[0:1], v[10:11], v[0:1], s[6:7] op_sel_hi:[0,1,1]
	s_mov_b32 s6, 0xb613414a
	s_mov_b32 s7, 0xb60e3784
	v_pk_fma_f32 v[0:1], v[10:11], v[0:1], s[6:7] op_sel_hi:[0,1,1]
	s_mov_b32 s6, 0x38b5922a
	;; [unrolled: 3-line block ×4, first 2 shown]
	s_mov_b32 s7, 0x3d4f819f
	v_pk_fma_f32 v[6:7], v[10:11], v[0:1], s[6:7] op_sel_hi:[0,1,1]
	v_mov_b32_e32 v0, 0xa2352a85
	v_fmac_f32_e32 v0, 0xa21e6225, v10
	v_mov_b32_e32 v1, 0x26309378
	s_mov_b32 s6, 0xa966819a
	v_fmac_f32_e32 v1, v10, v0
	v_mov_b32_e32 v0, 0x278feb72
	s_mov_b32 s7, 0xa8199a3d
	v_pk_fma_f32 v[0:1], v[10:11], v[0:1], s[6:7] op_sel_hi:[0,1,1]
	s_mov_b32 s6, 0xa93b3dc9
	s_mov_b32 s7, 0x29595f53
	v_pk_fma_f32 v[0:1], v[10:11], v[0:1], s[6:7] op_sel_hi:[0,1,1]
	s_mov_b32 s6, 0x2c944a61
	;; [unrolled: 3-line block ×9, first 2 shown]
	s_mov_b32 s7, 0x3995ec34
	v_pk_fma_f32 v[8:9], v[10:11], v[0:1], s[6:7] op_sel_hi:[0,1,1]
	v_mov_b32_e32 v0, 0x1fa36fde
	v_fmac_f32_e32 v0, 0x9dd50ccf, v10
	v_mov_b32_e32 v1, 0xa1ea30d0
	v_fmac_f32_e32 v1, v10, v0
	;; [unrolled: 2-line block ×13, first 2 shown]
.LBB0_21:
	s_or_b64 exec, exec, s[4:5]
                                        ; implicit-def: $vgpr16
.LBB0_22:
	s_andn2_saveexec_b64 s[4:5], s[24:25]
	s_cbranch_execz .LBB0_24
; %bb.23:
	v_add_f32_e32 v10, 0xc18c0000, v16
	v_mov_b32_e32 v0, 0x2661d98f
	v_fmac_f32_e32 v0, 0x255d37bb, v10
	v_mov_b32_e32 v1, 0xa912db57
	v_fmac_f32_e32 v1, v10, v0
	;; [unrolled: 2-line block ×11, first 2 shown]
	buffer_store_dword v0, off, s[0:3], s32 offset:392 ; 4-byte Folded Spill
	s_nop 0
	buffer_store_dword v1, off, s[0:3], s32 offset:396 ; 4-byte Folded Spill
	buffer_store_dword v2, off, s[0:3], s32 offset:400 ; 4-byte Folded Spill
	;; [unrolled: 1-line block ×6, first 2 shown]
	s_mov_b32 s6, 0x27121e07
	s_mov_b32 s7, 0x280c7c45
	v_mov_b32_e32 v0, 0x28371982
	v_mov_b32_e32 v1, 0x2987366b
	v_pk_fma_f32 v[0:1], v[10:11], s[6:7], v[0:1] op_sel_hi:[0,1,1]
	s_mov_b32 s6, 0xaabe943b
	s_mov_b32 s7, 0xabafe40f
	v_pk_fma_f32 v[0:1], v[10:11], v[0:1], s[6:7] op_sel_hi:[0,1,1]
	s_mov_b32 s6, 0xabe36223
	s_mov_b32 s7, 0xad33912c
	;; [unrolled: 3-line block ×10, first 2 shown]
	v_pk_fma_f32 v[2:3], v[10:11], v[0:1], s[6:7] op_sel_hi:[0,1,1]
	v_mov_b32_e32 v0, 0x28aee06f
	v_mov_b32_e32 v1, 0x2a0bc999
	s_mov_b32 s6, 0x2b08c803
	v_fmac_f32_e32 v0, 0xa752b1bb, v10
	v_fmac_f32_e32 v1, 0x285486e3, v10
	s_mov_b32 s7, 0xac88f6b3
	v_pk_fma_f32 v[0:1], v[10:11], v[0:1], s[6:7] op_sel_hi:[0,1,1]
	s_mov_b32 s6, 0xac62646a
	s_mov_b32 s7, 0xad0870fd
	v_pk_fma_f32 v[0:1], v[10:11], v[0:1], s[6:7] op_sel_hi:[0,1,1]
	s_mov_b32 s6, 0xaea4961d
	;; [unrolled: 3-line block ×10, first 2 shown]
	s_mov_b32 s7, 0x3ff33329
	v_pk_fma_f32 v[4:5], v[10:11], v[0:1], s[6:7] op_sel_hi:[0,1,1]
	v_mov_b32_e32 v0, 0xa6488387
	v_fmac_f32_e32 v0, 0x26fbf950, v10
	v_mov_b32_e32 v1, 0xaaa8ec10
	v_fmac_f32_e32 v1, v10, v0
	;; [unrolled: 2-line block ×5, first 2 shown]
	v_mov_b32_e32 v0, 0xb22e4af4
	v_mov_b32_e32 v1, 0x27054fe0
	v_fmac_f32_e32 v0, v10, v6
	v_fmac_f32_e32 v1, 0xa6a0414f, v10
	v_mov_b32_e32 v6, 0x2a096dcd
	v_fmac_f32_e32 v6, v10, v1
	v_mov_b32_e32 v1, 0x2bb3732b
	;; [unrolled: 2-line block ×5, first 2 shown]
	s_mov_b32 s6, 0x33f340d2
	v_fmac_f32_e32 v1, v10, v7
	s_mov_b32 s7, 0x349c1d5d
	v_pk_fma_f32 v[0:1], v[10:11], v[0:1], s[6:7] op_sel_hi:[0,1,1]
	s_mov_b32 s6, 0xb6405672
	s_mov_b32 s7, 0xb6cd742c
	v_pk_fma_f32 v[0:1], v[10:11], v[0:1], s[6:7] op_sel_hi:[0,1,1]
	s_mov_b32 s6, 0x38ffc3e5
	;; [unrolled: 3-line block ×4, first 2 shown]
	s_mov_b32 s7, 0x3d6cc0bb
	v_pk_fma_f32 v[6:7], v[10:11], v[0:1], s[6:7] op_sel_hi:[0,1,1]
	v_mov_b32_e32 v0, 0x27f0a4f0
	v_fmac_f32_e32 v0, 0xa688e20b, v10
	v_mov_b32_e32 v1, 0x273bcb3b
	v_fmac_f32_e32 v1, v10, v0
	;; [unrolled: 2-line block ×11, first 2 shown]
	s_mov_b32 s6, 0xb2172cb1
	v_mul_f32_e32 v0, v10, v0
	v_mul_f32_e32 v1, v10, v8
	s_mov_b32 s7, 0xb12dafa6
	v_pk_add_f32 v[0:1], v[0:1], s[6:7]
	s_mov_b32 s6, 0x34405a23
	s_mov_b32 s7, 0x330cc5c8
	v_pk_fma_f32 v[0:1], v[10:11], v[0:1], s[6:7] op_sel_hi:[0,1,1]
	s_mov_b32 s6, 0xb646b15e
	s_mov_b32 s7, 0xb4d19679
	v_pk_fma_f32 v[0:1], v[10:11], v[0:1], s[6:7] op_sel_hi:[0,1,1]
	;; [unrolled: 3-line block ×5, first 2 shown]
	v_mov_b32_e32 v0, 0xa0fac7b0
	v_fmac_f32_e32 v0, 0x1efe73e4, v10
	v_mov_b32_e32 v1, 0x22de7c76
	v_fmac_f32_e32 v1, v10, v0
	;; [unrolled: 2-line block ×14, first 2 shown]
.LBB0_24:
	s_or_b64 exec, exec, s[4:5]
                                        ; implicit-def: $vgpr16
.LBB0_25:
	s_andn2_saveexec_b64 s[4:5], s[22:23]
	s_cbranch_execz .LBB0_27
; %bb.26:
	v_add_f32_e32 v10, 0xc1480000, v16
	v_mov_b32_e32 v0, 0x264fc70a
	v_fmac_f32_e32 v0, 0xa440066a, v10
	v_mov_b32_e32 v1, 0x287b7ada
	v_fmac_f32_e32 v1, v10, v0
	;; [unrolled: 2-line block ×11, first 2 shown]
	buffer_store_dword v0, off, s[0:3], s32 offset:392 ; 4-byte Folded Spill
	s_nop 0
	buffer_store_dword v1, off, s[0:3], s32 offset:396 ; 4-byte Folded Spill
	buffer_store_dword v2, off, s[0:3], s32 offset:400 ; 4-byte Folded Spill
	;; [unrolled: 1-line block ×6, first 2 shown]
	s_mov_b32 s6, 0xa6038377
	s_mov_b32 s7, 0xa7363801
	v_mov_b32_e32 v0, 0x27e128b1
	v_mov_b32_e32 v1, 0x28c0afef
	v_pk_fma_f32 v[0:1], v[10:11], s[6:7], v[0:1] op_sel_hi:[0,1,1]
	s_mov_b32 s6, 0x2a43ab74
	s_mov_b32 s7, 0x2b5dec6d
	v_pk_fma_f32 v[0:1], v[10:11], v[0:1], s[6:7] op_sel_hi:[0,1,1]
	s_mov_b32 s6, 0x29c9db21
	s_mov_b32 s7, 0xab7dfc70
	;; [unrolled: 3-line block ×10, first 2 shown]
	v_pk_fma_f32 v[2:3], v[10:11], v[0:1], s[6:7] op_sel_hi:[0,1,1]
	v_mov_b32_e32 v0, 0x27c1c7be
	v_fmac_f32_e32 v0, 0xa7e77227, v10
	v_mov_b32_e32 v1, 0x2b7c3992
	v_fmac_f32_e32 v1, v10, v0
	;; [unrolled: 2-line block ×11, first 2 shown]
	s_mov_b32 s6, 0x3425c2ac
	v_mul_f32_e32 v0, v10, v0
	v_mul_f32_e32 v1, v10, v4
	s_mov_b32 s7, 0x35b42cd3
	v_pk_add_f32 v[0:1], v[0:1], s[6:7]
	s_mov_b32 s6, 0x3697b0f0
	s_mov_b32 s7, 0xb8704843
	v_pk_fma_f32 v[0:1], v[10:11], v[0:1], s[6:7] op_sel_hi:[0,1,1]
	s_mov_b32 s6, 0xb94611ab
	s_mov_b32 s7, 0xba7aae89
	v_pk_fma_f32 v[0:1], v[10:11], v[0:1], s[6:7] op_sel_hi:[0,1,1]
	;; [unrolled: 3-line block ×5, first 2 shown]
	v_mov_b32_e32 v0, 0x29a3683c
	v_fmac_f32_e32 v0, 0x2821c54e, v10
	v_mov_b32_e32 v1, 0x2983c391
	v_fmac_f32_e32 v1, v10, v0
	;; [unrolled: 2-line block ×10, first 2 shown]
	v_mov_b32_e32 v1, 0xb38934d8
	s_mov_b32 s6, 0x34b7b742
	v_fmac_f32_e32 v1, v10, v7
	s_mov_b32 s7, 0x358c6c6b
	v_pk_fma_f32 v[0:1], v[10:11], v[0:1], s[6:7] op_sel_hi:[0,1,1]
	s_mov_b32 s6, 0xb6fc44f3
	s_mov_b32 s7, 0xb7913f4b
	v_pk_fma_f32 v[0:1], v[10:11], v[0:1], s[6:7] op_sel_hi:[0,1,1]
	s_mov_b32 s6, 0x394ba703
	;; [unrolled: 3-line block ×4, first 2 shown]
	s_mov_b32 s7, 0x3d90094e
	v_pk_fma_f32 v[6:7], v[10:11], v[0:1], s[6:7] op_sel_hi:[0,1,1]
	v_mov_b32_e32 v1, 0xa44718f2
	v_fmac_f32_e32 v1, 0x22395373, v10
	v_mov_b32_e32 v8, 0x263d02b4
	v_mov_b32_e32 v0, 0xa7e0e884
	v_fmac_f32_e32 v8, v10, v1
	v_mov_b32_e32 v1, 0xa8371f1b
	s_mov_b32 s6, 0x29dff2d1
	v_fmac_f32_e32 v0, 0x25cf89a3, v10
	v_fmac_f32_e32 v1, v10, v8
	s_mov_b32 s7, 0x2a27e7db
	v_pk_fma_f32 v[0:1], v[10:11], v[0:1], s[6:7] op_sel_hi:[0,1,1]
	s_mov_b32 s6, 0xabf62839
	s_mov_b32 s7, 0xac1168b6
	v_pk_fma_f32 v[0:1], v[10:11], v[0:1], s[6:7] op_sel_hi:[0,1,1]
	s_mov_b32 s6, 0x2df3852b
	;; [unrolled: 3-line block ×10, first 2 shown]
	s_mov_b32 s7, 0x3a293868
	v_pk_fma_f32 v[8:9], v[10:11], v[0:1], s[6:7] op_sel_hi:[0,1,1]
	v_mov_b32_e32 v0, 0x221f8da1
	v_fmac_f32_e32 v0, 0xa018590b, v10
	v_mov_b32_e32 v1, 0xa40f5070
	v_fmac_f32_e32 v1, v10, v0
	;; [unrolled: 2-line block ×15, first 2 shown]
.LBB0_27:
	s_or_b64 exec, exec, s[4:5]
                                        ; implicit-def: $vgpr16
.LBB0_28:
	s_andn2_saveexec_b64 s[4:5], s[20:21]
	s_cbranch_execz .LBB0_30
; %bb.29:
	v_add_f32_e32 v10, 0xc0f00000, v16
	v_mov_b32_e32 v0, 0x2a55a02a
	v_fmac_f32_e32 v0, 0xa84d0c9c, v10
	v_mov_b32_e32 v1, 0xaca96f2d
	v_fmac_f32_e32 v1, v10, v0
	;; [unrolled: 2-line block ×9, first 2 shown]
	buffer_store_dword v0, off, s[0:3], s32 offset:392 ; 4-byte Folded Spill
	s_nop 0
	buffer_store_dword v1, off, s[0:3], s32 offset:396 ; 4-byte Folded Spill
	buffer_store_dword v2, off, s[0:3], s32 offset:400 ; 4-byte Folded Spill
	;; [unrolled: 1-line block ×6, first 2 shown]
	v_mov_b32_e32 v0, 0x28665c86
	v_fmac_f32_e32 v0, 0xa7844894, v10
	v_mov_b32_e32 v1, 0xabb6767e
	v_fmac_f32_e32 v1, v10, v0
	;; [unrolled: 2-line block ×4, first 2 shown]
	v_mul_f32_e32 v0, v10, v1
	v_mov_b32_e32 v1, 0xab44044a
	v_fmac_f32_e32 v1, 0x287a6e72, v10
	v_mov_b32_e32 v2, 0x2ba5a3f3
	v_fmac_f32_e32 v2, v10, v1
	;; [unrolled: 2-line block ×4, first 2 shown]
	s_mov_b32 s6, 0xb2d056bf
	v_mul_f32_e32 v1, v10, v2
	s_mov_b32 s7, 0x32f6f4e4
	v_pk_add_f32 v[0:1], v[0:1], s[6:7]
	s_mov_b32 s6, 0x355c3da2
	s_mov_b32 s7, 0x35e5ecbe
	v_pk_fma_f32 v[0:1], v[10:11], v[0:1], s[6:7] op_sel_hi:[0,1,1]
	s_mov_b32 s6, 0xb7b8de18
	s_mov_b32 s7, 0xb8a6923d
	v_pk_fma_f32 v[0:1], v[10:11], v[0:1], s[6:7] op_sel_hi:[0,1,1]
	;; [unrolled: 3-line block ×5, first 2 shown]
	s_mov_b32 s6, 0xa8664056
	s_mov_b32 s7, 0xaa067ae9
	v_mov_b32_e32 v0, 0x28b41034
	v_mov_b32_e32 v1, 0xac24b72c
	v_pk_fma_f32 v[0:1], v[10:11], s[6:7], v[0:1] op_sel_hi:[0,1,1]
	s_mov_b32 s6, 0x2c8410e9
	s_mov_b32 s7, 0x2cf16c3f
	v_pk_fma_f32 v[0:1], v[10:11], v[0:1], s[6:7] op_sel_hi:[0,1,1]
	s_mov_b32 s6, 0xadee3326
	s_mov_b32 s7, 0x302732ff
	;; [unrolled: 3-line block ×10, first 2 shown]
	v_pk_fma_f32 v[4:5], v[10:11], v[0:1], s[6:7] op_sel_hi:[0,1,1]
	v_mov_b32_e32 v0, 0xaa8bf20a
	v_fmac_f32_e32 v0, 0x280f4f2a, v10
	v_mov_b32_e32 v1, 0x2ca7857e
	v_fmac_f32_e32 v1, v10, v0
	;; [unrolled: 2-line block ×11, first 2 shown]
	v_mov_b32_e32 v1, 0xb4d7acee
	s_mov_b32 s6, 0x35765f9f
	v_fmac_f32_e32 v1, v10, v6
	s_mov_b32 s7, 0x36b7f45d
	v_pk_fma_f32 v[0:1], v[10:11], v[0:1], s[6:7] op_sel_hi:[0,1,1]
	s_mov_b32 s6, 0xb79cab50
	s_mov_b32 s7, 0xb891e4d6
	v_pk_fma_f32 v[0:1], v[10:11], v[0:1], s[6:7] op_sel_hi:[0,1,1]
	s_mov_b32 s6, 0x39c58e49
	;; [unrolled: 3-line block ×4, first 2 shown]
	s_mov_b32 s7, 0x3dc704bb
	v_pk_fma_f32 v[6:7], v[10:11], v[0:1], s[6:7] op_sel_hi:[0,1,1]
	v_mov_b32_e32 v1, 0x2877704b
	v_fmac_f32_e32 v1, 0xa66c9de8, v10
	v_mov_b32_e32 v0, 0xaa63c10f
	v_fmac_f32_e32 v0, v10, v1
	;; [unrolled: 2-line block ×5, first 2 shown]
	v_mov_b32_e32 v1, 0xab258bcd
	s_mov_b32 s6, 0x2c573107
	v_fmac_f32_e32 v1, v10, v9
	s_mov_b32 s7, 0x2d094fb3
	v_pk_fma_f32 v[0:1], v[10:11], v[0:1], s[6:7] op_sel_hi:[0,1,1]
	s_mov_b32 s6, 0xae40fb43
	s_mov_b32 s7, 0xaed3d353
	v_pk_fma_f32 v[0:1], v[10:11], v[0:1], s[6:7] op_sel_hi:[0,1,1]
	s_mov_b32 s6, 0x3022d611
	;; [unrolled: 3-line block ×10, first 2 shown]
	s_mov_b32 s7, 0x3b28c4c7
	v_pk_fma_f32 v[8:9], v[10:11], v[0:1], s[6:7] op_sel_hi:[0,1,1]
	v_mov_b32_e32 v0, 0xa3696281
	v_fmac_f32_e32 v0, 0x21572974, v10
	v_mov_b32_e32 v1, 0x25597533
	v_fmac_f32_e32 v1, v10, v0
	;; [unrolled: 2-line block ×16, first 2 shown]
.LBB0_30:
	s_or_b64 exec, exec, s[4:5]
                                        ; implicit-def: $vgpr16
.LBB0_31:
	s_andn2_saveexec_b64 s[4:5], s[18:19]
	s_cbranch_execz .LBB0_33
; %bb.32:
	v_add_f32_e32 v10, 0xc0400000, v16
	v_mov_b32_e32 v0, 0x2b652811
	v_fmac_f32_e32 v0, 0xa8e8888b, v10
	v_mov_b32_e32 v1, 0xadb9f664
	v_fmac_f32_e32 v1, v10, v0
	v_mov_b32_e32 v0, 0x300c2389
	v_fmac_f32_e32 v0, v10, v1
	v_mov_b32_e32 v1, 0xb2474a47
	v_fmac_f32_e32 v1, v10, v0
	v_mov_b32_e32 v0, 0x34848167
	v_fmac_f32_e32 v0, v10, v1
	v_mov_b32_e32 v1, 0xb6a5464f
	v_fmac_f32_e32 v1, v10, v0
	v_mov_b32_e32 v0, 0x38bd48ef
	v_fmac_f32_e32 v0, v10, v1
	v_mov_b32_e32 v1, 0xbabe4db0
	v_fmac_f32_e32 v1, v10, v0
	v_mov_b32_e32 v0, 0x3c8e1023
	v_fmac_f32_e32 v0, v10, v1
	buffer_store_dword v0, off, s[0:3], s32 offset:392 ; 4-byte Folded Spill
	s_nop 0
	buffer_store_dword v1, off, s[0:3], s32 offset:396 ; 4-byte Folded Spill
	buffer_store_dword v2, off, s[0:3], s32 offset:400 ; 4-byte Folded Spill
	;; [unrolled: 1-line block ×6, first 2 shown]
	v_mov_b32_e32 v0, 0x29754577
	v_fmac_f32_e32 v0, 0x283c4bc8, v10
	v_mov_b32_e32 v1, 0xaca9fa51
	v_fmac_f32_e32 v1, v10, v0
	;; [unrolled: 2-line block ×4, first 2 shown]
	v_mul_f32_e32 v0, v10, v1
	v_mov_b32_e32 v1, 0x2b26a6ba
	v_fmac_f32_e32 v1, 0xa99b4e1a, v10
	v_mov_b32_e32 v2, 0x2da27a98
	v_fmac_f32_e32 v2, v10, v1
	;; [unrolled: 2-line block ×4, first 2 shown]
	s_mov_b32 s6, 0xb2ca294c
	v_mul_f32_e32 v1, v10, v2
	s_mov_b32 s7, 0x34291137
	v_pk_add_f32 v[0:1], v[0:1], s[6:7]
	s_mov_b32 s6, 0x35c0f7e6
	s_mov_b32 s7, 0xb4d48681
	v_pk_fma_f32 v[0:1], v[10:11], v[0:1], s[6:7] op_sel_hi:[0,1,1]
	s_mov_b32 s6, 0xb83196c5
	s_mov_b32 s7, 0xb8c919df
	v_pk_fma_f32 v[0:1], v[10:11], v[0:1], s[6:7] op_sel_hi:[0,1,1]
	;; [unrolled: 3-line block ×5, first 2 shown]
	v_mov_b32_e32 v0, 0xadee3388
	v_fmac_f32_e32 v0, 0xac7e3ce8, v10
	v_mov_b32_e32 v1, 0x3072ed00
	v_fmac_f32_e32 v1, v10, v0
	v_mov_b32_e32 v0, 0x3288b91d
	v_fmac_f32_e32 v0, v10, v1
	v_mov_b32_e32 v1, 0x2c5ec5b6
	v_fmac_f32_e32 v1, 0x2b4880f0, v10
	v_mov_b32_e32 v4, 0xaec10040
	v_fmac_f32_e32 v4, v10, v1
	v_mov_b32_e32 v1, 0xb120ff49
	v_fmac_f32_e32 v1, v10, v4
	v_mov_b32_e32 v4, 0xb3163181
	v_fmac_f32_e32 v4, v10, v1
	s_mov_b32 s6, 0xb40e5bdd
	v_mul_f32_e32 v0, v10, v0
	v_mul_f32_e32 v1, v10, v4
	s_mov_b32 s7, 0xb4a2c3c3
	v_pk_add_f32 v[0:1], v[0:1], s[6:7]
	s_mov_b32 s6, 0xb6ff16b2
	s_mov_b32 s7, 0x35ca0349
	v_pk_fma_f32 v[0:1], v[10:11], v[0:1], s[6:7] op_sel_hi:[0,1,1]
	s_mov_b32 s6, 0xb89b672b
	s_mov_b32 s7, 0x391064e2
	v_pk_fma_f32 v[0:1], v[10:11], v[0:1], s[6:7] op_sel_hi:[0,1,1]
	;; [unrolled: 3-line block ×5, first 2 shown]
	v_mov_b32_e32 v0, 0xac089e7f
	v_fmac_f32_e32 v0, 0x29eaf8e8, v10
	v_mov_b32_e32 v1, 0x2e194b61
	v_fmac_f32_e32 v1, v10, v0
	;; [unrolled: 2-line block ×11, first 2 shown]
	v_mov_b32_e32 v1, 0xb655e8e2
	s_mov_b32 s6, 0x36519b48
	v_fmac_f32_e32 v1, v10, v6
	s_mov_b32 s7, 0x3811b880
	v_pk_fma_f32 v[0:1], v[10:11], v[0:1], s[6:7] op_sel_hi:[0,1,1]
	s_mov_b32 s6, 0xb8538ffc
	s_mov_b32 s7, 0xb9b52c0b
	v_pk_fma_f32 v[0:1], v[10:11], v[0:1], s[6:7] op_sel_hi:[0,1,1]
	s_mov_b32 s6, 0x3a51cdc7
	;; [unrolled: 3-line block ×4, first 2 shown]
	s_mov_b32 s7, 0x3e23ab95
	v_pk_fma_f32 v[6:7], v[10:11], v[0:1], s[6:7] op_sel_hi:[0,1,1]
	v_mov_b32_e32 v1, 0x2b143093
	v_fmac_f32_e32 v1, 0xa91a6110, v10
	v_mov_b32_e32 v0, 0xacfcc6b3
	v_fmac_f32_e32 v0, v10, v1
	v_mov_b32_e32 v1, 0xaa350dc3
	v_fmac_f32_e32 v1, 0x283b7ae5, v10
	v_mov_b32_e32 v8, 0x2c19a711
	v_fmac_f32_e32 v8, v10, v1
	v_mov_b32_e32 v1, 0xae0146bc
	s_mov_b32 s6, 0x2ed6b60e
	v_fmac_f32_e32 v1, v10, v8
	s_mov_b32 s7, 0x2fca44e6
	v_pk_fma_f32 v[0:1], v[10:11], v[0:1], s[6:7] op_sel_hi:[0,1,1]
	s_mov_b32 s6, 0xb0aaf9df
	s_mov_b32 s7, 0xb1919bb4
	v_pk_fma_f32 v[0:1], v[10:11], v[0:1], s[6:7] op_sel_hi:[0,1,1]
	s_mov_b32 s6, 0x327d03f8
	;; [unrolled: 3-line block ×10, first 2 shown]
	s_mov_b32 s7, 0x3cb626f5
	v_pk_fma_f32 v[8:9], v[10:11], v[0:1], s[6:7] op_sel_hi:[0,1,1]
	v_mov_b32_e32 v0, 0x286caab9
	v_fmac_f32_e32 v0, 0xa66b6b05, v10
	v_mov_b32_e32 v1, 0xaa5112f7
	v_fmac_f32_e32 v1, v10, v0
	;; [unrolled: 2-line block ×15, first 2 shown]
.LBB0_33:
	s_or_b64 exec, exec, s[4:5]
                                        ; implicit-def: $vgpr16
.LBB0_34:
	s_andn2_saveexec_b64 s[4:5], s[16:17]
	s_cbranch_execz .LBB0_36
; %bb.35:
	v_mov_b32_e32 v0, 0x30a78266
	v_fmac_f32_e32 v0, 0xae44739a, v16
	v_mov_b32_e32 v1, 0xb2e1e4d2
	v_fmac_f32_e32 v1, v16, v0
	;; [unrolled: 2-line block ×7, first 2 shown]
	buffer_store_dword v0, off, s[0:3], s32 offset:392 ; 4-byte Folded Spill
	s_nop 0
	buffer_store_dword v1, off, s[0:3], s32 offset:396 ; 4-byte Folded Spill
	buffer_store_dword v2, off, s[0:3], s32 offset:400 ; 4-byte Folded Spill
	buffer_store_dword v3, off, s[0:3], s32 offset:404 ; 4-byte Folded Spill
	buffer_store_dword v4, off, s[0:3], s32 offset:408 ; 4-byte Folded Spill
	buffer_store_dword v5, off, s[0:3], s32 offset:412 ; 4-byte Folded Spill
	buffer_store_dword v6, off, s[0:3], s32 offset:416 ; 4-byte Folded Spill
	v_mov_b32_e32 v0, 0xb19d1daf
	s_mov_b32 s6, 0x32d55286
	v_fmac_f32_e32 v0, 0x2f5455b2, v16
	v_mov_b32_e32 v1, 0x31a6a427
	s_mov_b32 s7, 0x340d3d23
	v_pk_fma_f32 v[0:1], v[16:17], v[0:1], s[6:7] op_sel_hi:[0,1,1]
	s_mov_b32 s6, 0x35ca49e0
	s_mov_b32 s7, 0xb639ac78
	v_pk_fma_f32 v[0:1], v[16:17], v[0:1], s[6:7] op_sel_hi:[0,1,1]
	s_mov_b32 s6, 0xb87eb4fd
	;; [unrolled: 3-line block ×5, first 2 shown]
	s_mov_b32 s7, 0x3f5b7b07
	v_pk_fma_f32 v[2:3], v[16:17], v[0:1], s[6:7] op_sel_hi:[0,1,1]
	v_mov_b32_e32 v1, 0x32984a3e
	s_mov_b32 s6, 0x348574d2
	v_mov_b32_e32 v4, 0xb691c9c6
	v_fmac_f32_e32 v1, 0xb2195195, v16
	v_mov_b32_e32 v0, 0x348574d2
	v_mov_b32_e32 v6, 0x35d72305
	;; [unrolled: 1-line block ×3, first 2 shown]
	v_pk_fma_f32 v[4:5], v[16:17], s[6:7], v[4:5] neg_lo:[1,0,0] neg_hi:[1,0,0]
	s_mov_b32 s7, 0x364c0fc5
	v_pk_fma_f32 v[0:1], v[16:17], v[0:1], s[6:7] op_sel_hi:[0,1,1]
	s_mov_b32 s6, 0xb54841fc
	v_mov_b32_e32 v5, v1
	s_mov_b32 s7, 0x38dded41
	v_pk_fma_f32 v[0:1], v[16:17], v[4:5], s[6:7] op_sel_hi:[0,1,1]
	s_mov_b32 s6, 0x3c25d2e0
	s_mov_b32 s7, 0x3d3c4488
	v_pk_fma_f32 v[0:1], v[16:17], v[0:1], s[6:7] op_sel_hi:[0,1,1]
	s_mov_b32 s6, 0xbe90feb9
	;; [unrolled: 3-line block ×3, first 2 shown]
	s_mov_b32 s7, 0x4193524d
	v_pk_fma_f32 v[4:5], v[16:17], v[0:1], s[6:7] op_sel_hi:[0,1,1]
	v_mov_b32_e32 v1, 0x33271f1f
	v_fmac_f32_e32 v1, 0xb10c10db, v16
	v_mov_b32_e32 v0, 0xb51d030a
	v_fmac_f32_e32 v0, v16, v1
	;; [unrolled: 2-line block ×3, first 2 shown]
	v_fmac_f32_e32 v6, v16, v1
	v_mov_b32_e32 v1, 0xb78a1b67
	s_mov_b32 s6, 0x370b4dcf
	v_fmac_f32_e32 v1, v16, v6
	s_mov_b32 s7, 0x39215157
	v_pk_fma_f32 v[0:1], v[16:17], v[0:1], s[6:7] op_sel_hi:[0,1,1]
	s_mov_b32 s6, 0xb8ed6fab
	s_mov_b32 s7, 0xbaa8e281
	v_pk_fma_f32 v[0:1], v[16:17], v[0:1], s[6:7] op_sel_hi:[0,1,1]
	s_mov_b32 s6, 0x3ac3775a
	s_mov_b32 s7, 0x3c19d2ef
	v_pk_fma_f32 v[0:1], v[16:17], v[0:1], s[6:7] op_sel_hi:[0,1,1]
	s_mov_b32 s6, 0xbca14620
	s_mov_b32 s7, 0xbd661675
	v_pk_fma_f32 v[0:1], v[16:17], v[0:1], s[6:7] op_sel_hi:[0,1,1]
	s_mov_b32 s6, 0x3e974ef4
	s_mov_b32 s7, 0x3e89dd54
	v_pk_fma_f32 v[6:7], v[16:17], v[0:1], s[6:7] op_sel_hi:[0,1,1]
	s_mov_b32 s6, 0xb221d38a
	s_mov_b32 s7, 0xb32556fa
	v_mov_b32_e32 v0, 0x341e535e
	v_mov_b32_e32 v1, 0x35181824
	v_pk_fma_f32 v[0:1], v[16:17], s[6:7], v[0:1] op_sel_hi:[0,1,1]
	s_mov_b32 s6, 0xb5d355cf
	s_mov_b32 s7, 0xb6b956a9
	v_pk_fma_f32 v[0:1], v[16:17], v[0:1], s[6:7] op_sel_hi:[0,1,1]
	s_mov_b32 s6, 0x37736f4a
	s_mov_b32 s7, 0x383e11ba
	;; [unrolled: 3-line block ×8, first 2 shown]
	v_pk_fma_f32 v[8:9], v[16:17], v[0:1], s[6:7] op_sel_hi:[0,1,1]
	v_mov_b32_e32 v0, 0xb38af695
	v_fmac_f32_e32 v0, 0x318cbc57, v16
	v_mov_b32_e32 v1, 0x35350544
	v_fmac_f32_e32 v1, v16, v0
	;; [unrolled: 2-line block ×9, first 2 shown]
	v_fmac_f32_e32 v21, v16, v0
.LBB0_36:
	s_or_b64 exec, exec, s[4:5]
                                        ; implicit-def: $vgpr16
.LBB0_37:
	s_andn2_saveexec_b64 s[4:5], s[14:15]
	s_cbranch_execz .LBB0_39
; %bb.38:
	v_mov_b32_e32 v0, 0x3cb9ade5
	v_fmac_f32_e32 v0, 0xbb0d784d, v16
	buffer_store_dword v0, off, s[0:3], s32 offset:392 ; 4-byte Folded Spill
	s_nop 0
	buffer_store_dword v1, off, s[0:3], s32 offset:396 ; 4-byte Folded Spill
	buffer_store_dword v2, off, s[0:3], s32 offset:400 ; 4-byte Folded Spill
	;; [unrolled: 1-line block ×6, first 2 shown]
	s_mov_b32 s6, 0xbcb46f9c
	s_mov_b32 s7, 0xbda7392a
	v_mov_b32_e32 v0, 0x3e6cd27d
	v_mov_b32_e32 v1, 0x3f5b7b07
	v_pk_fma_f32 v[2:3], v[16:17], s[6:7], v[0:1] op_sel_hi:[0,1,1]
	s_mov_b32 s6, 0xbe90feb9
	s_mov_b32 s7, 0xbfe07d69
	v_mov_b32_e32 v0, 0x403e4e52
	v_mov_b32_e32 v1, 0x4193524d
	v_pk_fma_f32 v[4:5], v[16:17], s[6:7], v[0:1] op_sel_hi:[0,1,1]
	;; [unrolled: 5-line block ×3, first 2 shown]
	s_mov_b32 s6, 0xbdc6e45f
	s_mov_b32 s7, 0xbdd2e6cb
	v_mov_b32_e32 v0, 0x3e60582d
	v_mov_b32_e32 v1, 0x3e1909c6
	;; [unrolled: 1-line block ×3, first 2 shown]
	v_pk_fma_f32 v[8:9], v[16:17], s[6:7], v[0:1] op_sel_hi:[0,1,1]
	v_fmac_f32_e32 v21, 0xbd6b057d, v16
.LBB0_39:
	s_or_b64 exec, exec, s[4:5]
	buffer_store_dword v7, off, s[0:3], s32 offset:164
	buffer_store_dword v6, off, s[0:3], s32 offset:160
	;; [unrolled: 1-line block ×4, first 2 shown]
	v_mov_b32_e32 v6, v5
	buffer_store_dword v2, off, s[0:3], s32 offset:420 ; 4-byte Folded Spill
	s_nop 0
	buffer_store_dword v3, off, s[0:3], s32 offset:424 ; 4-byte Folded Spill
	buffer_store_dword v4, off, s[0:3], s32 offset:428 ; 4-byte Folded Spill
	;; [unrolled: 1-line block ×6, first 2 shown]
	v_lshrrev_b32_e64 v0, 6, s32
	v_add_u32_e32 v0, 0xa0, v0
	s_mov_b64 s[4:5], exec
	v_add_u32_e32 v0, 16, v0
	v_mov_b32_e32 v5, v4
	v_mov_b32_e32 v4, v3
	buffer_store_dword v2, off, s[0:3], s32 offset:448 ; 4-byte Folded Spill
	s_nop 0
	buffer_store_dword v3, off, s[0:3], s32 offset:452 ; 4-byte Folded Spill
	buffer_store_dword v4, off, s[0:3], s32 offset:456 ; 4-byte Folded Spill
	;; [unrolled: 1-line block ×6, first 2 shown]
	buffer_load_dword v4, off, s[0:3], s32 offset:392 ; 4-byte Folded Reload
	s_nop 0
	buffer_load_dword v5, off, s[0:3], s32 offset:396 ; 4-byte Folded Reload
	buffer_load_dword v6, off, s[0:3], s32 offset:400 ; 4-byte Folded Reload
	;; [unrolled: 1-line block ×6, first 2 shown]
	s_waitcnt vmcnt(5)
	v_mov_b32_e32 v5, v2
	s_waitcnt vmcnt(0)
	buffer_store_dword v4, off, s[0:3], s32 offset:392 ; 4-byte Folded Spill
	s_nop 0
	buffer_store_dword v5, off, s[0:3], s32 offset:396 ; 4-byte Folded Spill
	buffer_store_dword v6, off, s[0:3], s32 offset:400 ; 4-byte Folded Spill
	;; [unrolled: 1-line block ×6, first 2 shown]
.LBB0_40:
	s_or_b64 exec, exec, s[12:13]
	s_and_b64 s[12:13], s[4:5], exec
                                        ; implicit-def: $vgpr16
.LBB0_41:
	s_andn2_saveexec_b64 s[10:11], s[10:11]
	s_cbranch_execz .LBB0_81
; %bb.42:
	v_accvgpr_read_b32 v0, a16
                                        ; implicit-def: $vgpr3
	v_cmp_eq_u32_e32 vcc, 3, v0
	s_mov_b64 s[4:5], s[12:13]
	buffer_store_dword v0, off, s[0:3], s32 offset:448 ; 4-byte Folded Spill
	s_nop 0
	buffer_store_dword v1, off, s[0:3], s32 offset:452 ; 4-byte Folded Spill
	buffer_store_dword v2, off, s[0:3], s32 offset:456 ; 4-byte Folded Spill
	buffer_store_dword v3, off, s[0:3], s32 offset:460 ; 4-byte Folded Spill
	buffer_store_dword v4, off, s[0:3], s32 offset:464 ; 4-byte Folded Spill
	buffer_store_dword v5, off, s[0:3], s32 offset:468 ; 4-byte Folded Spill
	buffer_store_dword v6, off, s[0:3], s32 offset:472 ; 4-byte Folded Spill
                                        ; implicit-def: $vgpr21
                                        ; implicit-def: $vgpr0
	s_and_saveexec_b64 s[14:15], vcc
                                        ; implicit-def: $vgpr2_vgpr3_vgpr4_vgpr5_vgpr6_vgpr7_vgpr8
                                        ; kill: killed $vgpr2_vgpr3_vgpr4_vgpr5_vgpr6_vgpr7_vgpr8
	s_cbranch_execz .LBB0_80
; %bb.43:
	s_mov_b32 s4, 0x34a10fb0
	v_cmp_ge_f32_e32 vcc, s4, v16
                                        ; implicit-def: $vgpr2_vgpr3
                                        ; implicit-def: $vgpr7
                                        ; implicit-def: $vgpr20_vgpr21
	buffer_store_dword v0, off, s[0:3], s32 offset:448 ; 4-byte Folded Spill
	s_nop 0
	buffer_store_dword v1, off, s[0:3], s32 offset:452 ; 4-byte Folded Spill
	buffer_store_dword v2, off, s[0:3], s32 offset:456 ; 4-byte Folded Spill
	;; [unrolled: 1-line block ×6, first 2 shown]
	s_and_saveexec_b64 s[4:5], vcc
	s_xor_b64 s[4:5], exec, s[4:5]
                                        ; implicit-def: $vgpr0_vgpr1_vgpr2_vgpr3_vgpr4_vgpr5_vgpr6
                                        ; kill: killed $vgpr0_vgpr1_vgpr2_vgpr3_vgpr4_vgpr5_vgpr6
	s_cbranch_execz .LBB0_45
; %bb.44:
	s_mov_b32 s6, 0xbb863b96
	s_mov_b32 s7, 0xbd37ded9
	v_mov_b32_e32 v0, 0x3d0e9f4f
	v_mov_b32_e32 v1, 0x3ec35cc6
	v_pk_fma_f32 v[0:1], v[16:17], s[6:7], v[0:1] op_sel_hi:[0,1,1]
	buffer_store_dword v0, off, s[0:3], s32 offset:392 ; 4-byte Folded Spill
	s_nop 0
	buffer_store_dword v1, off, s[0:3], s32 offset:396 ; 4-byte Folded Spill
	buffer_store_dword v2, off, s[0:3], s32 offset:400 ; 4-byte Folded Spill
	;; [unrolled: 1-line block ×6, first 2 shown]
	s_mov_b32 s6, 0xbe514b60
	s_mov_b32 s7, 0xbfb26435
	v_mov_b32_e32 v0, 0x3fde6016
	v_mov_b32_e32 v1, 0x413d8a78
	v_pk_fma_f32 v[2:3], v[16:17], s[6:7], v[0:1] op_sel_hi:[0,1,1]
	s_mov_b32 s6, 0xbd008cf6
	s_mov_b32 s7, 0xbdb7eb7d
	buffer_store_dword v0, off, s[0:3], s32 offset:448 ; 4-byte Folded Spill
	s_nop 0
	buffer_store_dword v1, off, s[0:3], s32 offset:452 ; 4-byte Folded Spill
	buffer_store_dword v2, off, s[0:3], s32 offset:456 ; 4-byte Folded Spill
	;; [unrolled: 1-line block ×6, first 2 shown]
	v_mov_b32_e32 v0, 0x3eb9b1b0
	v_mov_b32_e32 v1, 0x3ea09e28
	v_pk_fma_f32 v[6:7], v[16:17], s[6:7], v[0:1] op_sel_hi:[0,1,1]
	s_mov_b32 s6, 0xbe046afd
	s_mov_b32 s7, 0xbda9a2ba
	v_mov_b32_e32 v0, 0x3e63b7db
	v_mov_b32_e32 v1, 0x3dcf50e8
	v_pk_fma_f32 v[20:21], v[16:17], s[6:7], v[0:1] op_sel_hi:[0,1,1]
                                        ; implicit-def: $vgpr16
.LBB0_45:
	s_andn2_saveexec_b64 s[16:17], s[4:5]
	s_cbranch_execz .LBB0_79
; %bb.46:
	v_cmp_ge_f32_e32 vcc, 1.0, v16
                                        ; implicit-def: $vgpr2_vgpr3
                                        ; implicit-def: $vgpr7
                                        ; implicit-def: $vgpr20_vgpr21
	buffer_store_dword v0, off, s[0:3], s32 offset:448 ; 4-byte Folded Spill
	s_nop 0
	buffer_store_dword v1, off, s[0:3], s32 offset:452 ; 4-byte Folded Spill
	buffer_store_dword v2, off, s[0:3], s32 offset:456 ; 4-byte Folded Spill
	buffer_store_dword v3, off, s[0:3], s32 offset:460 ; 4-byte Folded Spill
	buffer_store_dword v4, off, s[0:3], s32 offset:464 ; 4-byte Folded Spill
	buffer_store_dword v5, off, s[0:3], s32 offset:468 ; 4-byte Folded Spill
	buffer_store_dword v6, off, s[0:3], s32 offset:472 ; 4-byte Folded Spill
	s_and_saveexec_b64 s[4:5], vcc
	s_xor_b64 s[4:5], exec, s[4:5]
                                        ; implicit-def: $vgpr0_vgpr1_vgpr2_vgpr3_vgpr4_vgpr5_vgpr6
                                        ; kill: killed $vgpr0_vgpr1_vgpr2_vgpr3_vgpr4_vgpr5_vgpr6
	s_cbranch_execz .LBB0_48
; %bb.47:
	v_mov_b32_e32 v1, 0x31b29714
	v_fmac_f32_e32 v1, 0xaf56bec5, v16
	v_mov_b32_e32 v0, 0xb3da8534
	v_fmac_f32_e32 v0, v16, v1
	v_mov_b32_e32 v1, 0x34a521e7
	s_mov_b32 s6, 0x35e7587c
	v_fmac_f32_e32 v1, 0xb2a2d38f, v16
	s_mov_b32 s7, 0x35aa969a
	v_pk_fma_f32 v[0:1], v[16:17], v[0:1], s[6:7] op_sel_hi:[0,1,1]
	s_mov_b32 s6, 0xb7db1d08
	s_mov_b32 s7, 0xb9149d52
	v_pk_fma_f32 v[0:1], v[16:17], v[0:1], s[6:7] op_sel_hi:[0,1,1]
	s_mov_b32 s6, 0x39b9084c
	;; [unrolled: 3-line block ×4, first 2 shown]
	s_mov_b32 s7, 0x3ec35cc6
	v_pk_fma_f32 v[0:1], v[16:17], v[0:1], s[6:7] op_sel_hi:[0,1,1]
	buffer_store_dword v0, off, s[0:3], s32 offset:392 ; 4-byte Folded Spill
	s_nop 0
	buffer_store_dword v1, off, s[0:3], s32 offset:396 ; 4-byte Folded Spill
	buffer_store_dword v2, off, s[0:3], s32 offset:400 ; 4-byte Folded Spill
	;; [unrolled: 1-line block ×6, first 2 shown]
	v_mov_b32_e32 v1, 0x3310894f
	v_fmac_f32_e32 v1, 0x30f3a70b, v16
	v_mov_b32_e32 v0, 0xb48ab230
	v_fmac_f32_e32 v0, v16, v1
	v_mov_b32_e32 v1, 0xb485f05f
	s_mov_b32 s6, 0xb73eaa1c
	v_fmac_f32_e32 v1, 0xb371075f, v16
	s_mov_b32 s7, 0x3666185c
	v_pk_fma_f32 v[0:1], v[16:17], v[0:1], s[6:7] op_sel_hi:[0,1,1]
	s_mov_b32 s6, 0xb8a5ffff
	s_mov_b32 s7, 0x39300e83
	v_pk_fma_f32 v[0:1], v[16:17], v[0:1], s[6:7] op_sel_hi:[0,1,1]
	s_mov_b32 s6, 0x3c2a1bb5
	;; [unrolled: 3-line block ×5, first 2 shown]
	s_mov_b32 s7, 0x39f8a3a0
	buffer_store_dword v0, off, s[0:3], s32 offset:448 ; 4-byte Folded Spill
	s_nop 0
	buffer_store_dword v1, off, s[0:3], s32 offset:452 ; 4-byte Folded Spill
	buffer_store_dword v2, off, s[0:3], s32 offset:456 ; 4-byte Folded Spill
	;; [unrolled: 1-line block ×6, first 2 shown]
	v_mov_b32_e32 v1, 0x3449e154
	v_fmac_f32_e32 v1, 0xb244f74c, v16
	v_mov_b32_e32 v0, 0xb61c91a5
	v_fmac_f32_e32 v0, v16, v1
	;; [unrolled: 2-line block ×6, first 2 shown]
	v_pk_fma_f32 v[0:1], v[16:17], v[0:1], s[6:7] op_sel_hi:[0,1,1]
	s_mov_b32 s6, 0xb99a480a
	s_mov_b32 s7, 0xbb564625
	v_pk_fma_f32 v[0:1], v[16:17], v[0:1], s[6:7] op_sel_hi:[0,1,1]
	s_mov_b32 s6, 0x3b48e65f
	s_mov_b32 s7, 0x3c9d30f7
	;; [unrolled: 3-line block ×4, first 2 shown]
	v_pk_fma_f32 v[6:7], v[16:17], v[0:1], s[6:7] op_sel_hi:[0,1,1]
	v_mov_b32_e32 v0, 0x35082932
	v_fmac_f32_e32 v0, 0xb312c10a, v16
	v_mov_b32_e32 v1, 0xb6a8559c
	v_fmac_f32_e32 v1, v16, v0
	;; [unrolled: 2-line block ×7, first 2 shown]
	s_mov_b32 s6, 0xb9a18075
	v_mul_f32_e32 v0, v16, v0
	v_mul_f32_e32 v1, v16, v2
	s_mov_b32 s7, 0xb9cab6b2
	v_pk_add_f32 v[0:1], v[0:1], s[6:7]
	s_mov_b32 s6, 0x3afed882
	s_mov_b32 s7, 0x3b0f2461
	v_pk_fma_f32 v[0:1], v[16:17], v[0:1], s[6:7] op_sel_hi:[0,1,1]
	s_mov_b32 s6, 0xbc27e650
	s_mov_b32 s7, 0xbc23ce46
	v_pk_fma_f32 v[0:1], v[16:17], v[0:1], s[6:7] op_sel_hi:[0,1,1]
	;; [unrolled: 3-line block ×5, first 2 shown]
                                        ; implicit-def: $vgpr16
.LBB0_48:
	s_andn2_saveexec_b64 s[18:19], s[4:5]
	s_cbranch_execz .LBB0_78
; %bb.49:
	s_mov_b32 s4, 0x40a00000
	v_cmp_ge_f32_e32 vcc, s4, v16
                                        ; implicit-def: $vgpr2_vgpr3
                                        ; implicit-def: $vgpr7
                                        ; implicit-def: $vgpr20_vgpr21
	buffer_store_dword v0, off, s[0:3], s32 offset:448 ; 4-byte Folded Spill
	s_nop 0
	buffer_store_dword v1, off, s[0:3], s32 offset:452 ; 4-byte Folded Spill
	buffer_store_dword v2, off, s[0:3], s32 offset:456 ; 4-byte Folded Spill
	;; [unrolled: 1-line block ×6, first 2 shown]
	s_and_saveexec_b64 s[4:5], vcc
	s_xor_b64 s[4:5], exec, s[4:5]
                                        ; implicit-def: $vgpr0_vgpr1_vgpr2_vgpr3_vgpr4_vgpr5_vgpr6
                                        ; kill: killed $vgpr0_vgpr1_vgpr2_vgpr3_vgpr4_vgpr5_vgpr6
	s_cbranch_execz .LBB0_51
; %bb.50:
	v_add_f32_e32 v2, 0xc0400000, v16
	v_mov_b32_e32 v0, 0xaa160d59
	v_fmac_f32_e32 v0, 0xa6d61ce4, v2
	v_mov_b32_e32 v1, 0x2c8f262f
	v_fmac_f32_e32 v1, v2, v0
	;; [unrolled: 2-line block ×4, first 2 shown]
	v_mul_f32_e32 v0, v2, v1
	v_mov_b32_e32 v1, 0xac21b027
	v_fmac_f32_e32 v1, 0x2a18ee80, v2
	v_mov_b32_e32 v3, 0xac867503
	v_fmac_f32_e32 v3, v2, v1
	;; [unrolled: 2-line block ×4, first 2 shown]
	s_mov_b32 s6, 0xb32d1eb9
	v_mul_f32_e32 v1, v2, v3
	s_mov_b32 s7, 0x3280eba4
	v_pk_add_f32 v[0:1], v[0:1], s[6:7]
	s_mov_b32 s6, 0x3543cc7f
	s_mov_b32 s7, 0x366a1bcb
	v_pk_fma_f32 v[0:1], v[2:3], v[0:1], s[6:7] op_sel_hi:[0,1,1]
	s_mov_b32 s6, 0xb74e8ece
	s_mov_b32 s7, 0xb8e3f2be
	v_pk_fma_f32 v[0:1], v[2:3], v[0:1], s[6:7] op_sel_hi:[0,1,1]
	;; [unrolled: 3-line block ×5, first 2 shown]
	buffer_store_dword v0, off, s[0:3], s32 offset:392 ; 4-byte Folded Spill
	s_nop 0
	buffer_store_dword v1, off, s[0:3], s32 offset:396 ; 4-byte Folded Spill
	buffer_store_dword v2, off, s[0:3], s32 offset:400 ; 4-byte Folded Spill
	;; [unrolled: 1-line block ×6, first 2 shown]
	v_mov_b32_e32 v0, 0x2d3d0c80
	v_mov_b32_e32 v1, 0xaf22fa6a
	;; [unrolled: 1-line block ×3, first 2 shown]
	s_mov_b32 s6, 0x350a7e69
	s_mov_b32 s7, 0xb6034ffe
                                        ; implicit-def: $vgpr16
	v_fmac_f32_e32 v0, 0x2b0d8684, v2
	v_fmac_f32_e32 v1, v2, v0
	v_mov_b32_e32 v0, 0xb113fe48
	v_fmac_f32_e32 v0, v2, v1
	v_mov_b32_e32 v1, 0x331cf11f
	v_fmac_f32_e32 v1, v2, v0
	v_mul_f32_e32 v0, v2, v1
	v_mov_b32_e32 v1, 0x2e8d10d0
	v_fmac_f32_e32 v1, 0xab98b6fb, v2
	v_fmac_f32_e32 v3, v2, v1
	v_mov_b32_e32 v1, 0xb118157a
	v_fmac_f32_e32 v1, v2, v3
	v_mov_b32_e32 v3, 0xb41b809d
	v_fmac_f32_e32 v3, v2, v1
	v_mul_f32_e32 v1, v2, v3
	v_pk_add_f32 v[0:1], v[0:1], s[6:7]
	s_mov_b32 s6, 0xb71fc8c5
	s_mov_b32 s7, 0xb73452e0
	v_pk_fma_f32 v[0:1], v[2:3], v[0:1], s[6:7] op_sel_hi:[0,1,1]
	s_mov_b32 s6, 0xb963125a
	s_mov_b32 s7, 0x391c9710
	v_pk_fma_f32 v[0:1], v[2:3], v[0:1], s[6:7] op_sel_hi:[0,1,1]
	;; [unrolled: 3-line block ×5, first 2 shown]
	buffer_store_dword v2, off, s[0:3], s32 offset:448 ; 4-byte Folded Spill
	s_nop 0
	buffer_store_dword v3, off, s[0:3], s32 offset:452 ; 4-byte Folded Spill
	buffer_store_dword v4, off, s[0:3], s32 offset:456 ; 4-byte Folded Spill
	;; [unrolled: 1-line block ×6, first 2 shown]
	v_mov_b32_e32 v0, 0x2b558be6
	v_mov_b32_e32 v1, 0xad50b625
	;; [unrolled: 1-line block ×4, first 2 shown]
	s_mov_b32 s6, 0x37090acb
	s_mov_b32 s7, 0x38a8b067
	v_fmac_f32_e32 v0, 0xa951c74e, v2
	v_fmac_f32_e32 v1, v2, v0
	v_mov_b32_e32 v0, 0x2f4cc410
	v_fmac_f32_e32 v0, v2, v1
	v_mov_b32_e32 v1, 0xb1405f8e
	v_fmac_f32_e32 v1, v2, v0
	v_fmac_f32_e32 v3, v2, v1
	v_mov_b32_e32 v0, 0xb51f472b
	v_mov_b32_e32 v1, 0x2a7e0d84
	v_fmac_f32_e32 v0, v2, v3
	v_fmac_f32_e32 v1, 0xa883d0e0, v2
	v_mov_b32_e32 v3, 0xac5b4987
	v_fmac_f32_e32 v3, v2, v1
	v_mov_b32_e32 v1, 0x2e3e145e
	;; [unrolled: 2-line block ×5, first 2 shown]
	v_fmac_f32_e32 v3, v2, v1
	v_fmac_f32_e32 v4, v2, v3
	v_mov_b32_e32 v1, 0xb713467b
	v_fmac_f32_e32 v1, v2, v4
	v_pk_fma_f32 v[0:1], v[2:3], v[0:1], s[6:7] op_sel_hi:[0,1,1]
	s_mov_b32 s6, 0xb8e4911e
	s_mov_b32 s7, 0xba2e1a4d
	v_pk_fma_f32 v[0:1], v[2:3], v[0:1], s[6:7] op_sel_hi:[0,1,1]
	s_mov_b32 s6, 0x3ab947dc
	s_mov_b32 s7, 0x3b9dac6e
	;; [unrolled: 3-line block ×4, first 2 shown]
	v_pk_fma_f32 v[6:7], v[2:3], v[0:1], s[6:7] op_sel_hi:[0,1,1]
	v_mov_b32_e32 v0, 0xaa1e3c47
	v_fmac_f32_e32 v0, 0x28235b54, v2
	v_mov_b32_e32 v1, 0x2c070e7f
	v_fmac_f32_e32 v1, v2, v0
	;; [unrolled: 2-line block ×6, first 2 shown]
	v_mov_b32_e32 v1, 0xae37027e
	s_mov_b32 s6, 0x2fb566f3
	v_fmac_f32_e32 v1, v2, v4
	s_mov_b32 s7, 0x300a0690
	v_pk_fma_f32 v[0:1], v[2:3], v[0:1], s[6:7] op_sel_hi:[0,1,1]
	s_mov_b32 s6, 0xb184c012
	s_mov_b32 s7, 0xb1be86c1
	v_pk_fma_f32 v[0:1], v[2:3], v[0:1], s[6:7] op_sel_hi:[0,1,1]
	s_mov_b32 s6, 0x3332c8ea
	;; [unrolled: 3-line block ×10, first 2 shown]
	s_mov_b32 s7, 0x3c1e4838
	v_pk_fma_f32 v[20:21], v[2:3], v[0:1], s[6:7] op_sel_hi:[0,1,1]
.LBB0_51:
	s_andn2_saveexec_b64 s[20:21], s[4:5]
	s_cbranch_execz .LBB0_77
; %bb.52:
	s_mov_b32 s4, 0x41200000
	v_cmp_ge_f32_e32 vcc, s4, v16
                                        ; implicit-def: $vgpr2_vgpr3
                                        ; implicit-def: $vgpr7
                                        ; implicit-def: $vgpr20_vgpr21
	buffer_store_dword v0, off, s[0:3], s32 offset:448 ; 4-byte Folded Spill
	s_nop 0
	buffer_store_dword v1, off, s[0:3], s32 offset:452 ; 4-byte Folded Spill
	buffer_store_dword v2, off, s[0:3], s32 offset:456 ; 4-byte Folded Spill
	;; [unrolled: 1-line block ×6, first 2 shown]
	s_and_saveexec_b64 s[4:5], vcc
	s_xor_b64 s[4:5], exec, s[4:5]
                                        ; implicit-def: $vgpr0_vgpr1_vgpr2_vgpr3_vgpr4_vgpr5_vgpr6
                                        ; kill: killed $vgpr0_vgpr1_vgpr2_vgpr3_vgpr4_vgpr5_vgpr6
	s_cbranch_execz .LBB0_54
; %bb.53:
	s_mov_b32 s6, 0x27a7407e
	v_add_f32_e32 v2, 0xc0f00000, v16
	s_mov_b32 s7, 0x290465b7
	v_mov_b32_e32 v0, 0xa7e238da
	v_mov_b32_e32 v1, 0x2b6e9696
	v_pk_fma_f32 v[0:1], v[2:3], s[6:7], v[0:1] op_sel_hi:[0,1,1]
	s_mov_b32 s6, 0x2ac2e816
	s_mov_b32 s7, 0xad7e7037
	v_pk_fma_f32 v[0:1], v[2:3], v[0:1], s[6:7] op_sel_hi:[0,1,1]
	s_mov_b32 s6, 0xae00bdac
	s_mov_b32 s7, 0xacd85aab
	;; [unrolled: 3-line block ×9, first 2 shown]
	v_pk_fma_f32 v[0:1], v[2:3], v[0:1], s[6:7] op_sel_hi:[0,1,1]
	buffer_store_dword v0, off, s[0:3], s32 offset:392 ; 4-byte Folded Spill
	s_nop 0
	buffer_store_dword v1, off, s[0:3], s32 offset:396 ; 4-byte Folded Spill
	buffer_store_dword v2, off, s[0:3], s32 offset:400 ; 4-byte Folded Spill
	;; [unrolled: 1-line block ×6, first 2 shown]
	v_mov_b32_e32 v1, 0x2b58703b
	s_mov_b32 s6, 0xa9901fe5
	v_mov_b32_e32 v0, 0x290430f6
	s_mov_b32 s7, 0x2ccacda3
                                        ; implicit-def: $vgpr16
	v_fmac_f32_e32 v1, 0xa8921ba1, v2
	v_pk_fma_f32 v[0:1], v[2:3], v[0:1], s[6:7] op_sel_hi:[0,1,1]
	s_mov_b32 s6, 0xac3db225
	s_mov_b32 s7, 0xaf17cd6e
	v_pk_fma_f32 v[0:1], v[2:3], v[0:1], s[6:7] op_sel_hi:[0,1,1]
	s_mov_b32 s6, 0x2ee1dba1
	s_mov_b32 s7, 0xb0cafa08
	;; [unrolled: 3-line block ×10, first 2 shown]
	v_pk_fma_f32 v[4:5], v[2:3], v[0:1], s[6:7] op_sel_hi:[0,1,1]
	buffer_store_dword v2, off, s[0:3], s32 offset:448 ; 4-byte Folded Spill
	s_nop 0
	buffer_store_dword v3, off, s[0:3], s32 offset:452 ; 4-byte Folded Spill
	buffer_store_dword v4, off, s[0:3], s32 offset:456 ; 4-byte Folded Spill
	;; [unrolled: 1-line block ×6, first 2 shown]
	v_mov_b32_e32 v0, 0x299bc9cd
	v_mov_b32_e32 v1, 0xab8082b3
	;; [unrolled: 1-line block ×4, first 2 shown]
	s_mov_b32 s6, 0x3603790f
	s_mov_b32 s7, 0x37187101
	v_fmac_f32_e32 v0, 0xa6ef395d, v2
	v_fmac_f32_e32 v1, v2, v0
	v_mov_b32_e32 v0, 0x2d76e0e6
	v_fmac_f32_e32 v0, v2, v1
	v_mov_b32_e32 v1, 0xafc9e21d
	v_fmac_f32_e32 v1, v2, v0
	v_fmac_f32_e32 v3, v2, v1
	v_mov_b32_e32 v0, 0xb3df2bba
	v_mov_b32_e32 v1, 0x27e16f6a
	v_fmac_f32_e32 v0, v2, v3
	v_fmac_f32_e32 v1, 0xa5cdf0a4, v2
	v_mov_b32_e32 v3, 0xa9d97501
	v_fmac_f32_e32 v3, v2, v1
	v_mov_b32_e32 v1, 0x2bd4368f
	;; [unrolled: 2-line block ×5, first 2 shown]
	v_fmac_f32_e32 v3, v2, v1
	v_fmac_f32_e32 v4, v2, v3
	v_mov_b32_e32 v1, 0xb5522ff6
	v_fmac_f32_e32 v1, v2, v4
	v_pk_fma_f32 v[0:1], v[2:3], v[0:1], s[6:7] op_sel_hi:[0,1,1]
	s_mov_b32 s6, 0xb80bde98
	s_mov_b32 s7, 0xb8cedb3f
	v_pk_fma_f32 v[0:1], v[2:3], v[0:1], s[6:7] op_sel_hi:[0,1,1]
	s_mov_b32 s6, 0x3a15fd4a
	s_mov_b32 s7, 0x3a7e2eef
	;; [unrolled: 3-line block ×4, first 2 shown]
	v_pk_fma_f32 v[6:7], v[2:3], v[0:1], s[6:7] op_sel_hi:[0,1,1]
	v_mov_b32_e32 v0, 0xa7417bc5
	v_fmac_f32_e32 v0, 0x253def64, v2
	v_mov_b32_e32 v1, 0x292aa2ef
	v_fmac_f32_e32 v1, v2, v0
	;; [unrolled: 2-line block ×6, first 2 shown]
	v_mov_b32_e32 v1, 0xab46ebdc
	s_mov_b32 s6, 0x2d04ecbc
	v_fmac_f32_e32 v1, v2, v4
	s_mov_b32 s7, 0x2d1ab276
	v_pk_fma_f32 v[0:1], v[2:3], v[0:1], s[6:7] op_sel_hi:[0,1,1]
	s_mov_b32 s6, 0xaed51817
	s_mov_b32 s7, 0xaedd3dc5
	v_pk_fma_f32 v[0:1], v[2:3], v[0:1], s[6:7] op_sel_hi:[0,1,1]
	s_mov_b32 s6, 0x309f79ed
	;; [unrolled: 3-line block ×10, first 2 shown]
	s_mov_b32 s7, 0x3a0a07c1
	v_pk_fma_f32 v[20:21], v[2:3], v[0:1], s[6:7] op_sel_hi:[0,1,1]
.LBB0_54:
	s_andn2_saveexec_b64 s[22:23], s[4:5]
	s_cbranch_execz .LBB0_76
; %bb.55:
	s_mov_b32 s4, 0x41700000
	v_cmp_ge_f32_e32 vcc, s4, v16
                                        ; implicit-def: $vgpr2_vgpr3
                                        ; implicit-def: $vgpr7
                                        ; implicit-def: $vgpr20_vgpr21
	buffer_store_dword v0, off, s[0:3], s32 offset:448 ; 4-byte Folded Spill
	s_nop 0
	buffer_store_dword v1, off, s[0:3], s32 offset:452 ; 4-byte Folded Spill
	buffer_store_dword v2, off, s[0:3], s32 offset:456 ; 4-byte Folded Spill
	;; [unrolled: 1-line block ×6, first 2 shown]
	s_and_saveexec_b64 s[4:5], vcc
	s_xor_b64 s[6:7], exec, s[4:5]
                                        ; implicit-def: $vgpr0_vgpr1_vgpr2_vgpr3_vgpr4_vgpr5_vgpr6
                                        ; kill: killed $vgpr0_vgpr1_vgpr2_vgpr3_vgpr4_vgpr5_vgpr6
	s_cbranch_execz .LBB0_57
; %bb.56:
	v_add_f32_e32 v2, 0xc1480000, v16
	v_mov_b32_e32 v0, 0x26679cea
	v_mov_b32_e32 v1, 0x283fa7d8
	s_mov_b32 s4, 0xa7c9bad2
	v_fmac_f32_e32 v0, 0x246437e5, v2
	v_fmac_f32_e32 v1, 0x260d0261, v2
	s_mov_b32 s5, 0xa975471b
	v_pk_fma_f32 v[0:1], v[2:3], v[0:1], s[4:5] op_sel_hi:[0,1,1]
	s_mov_b32 s4, 0xaa1b39e8
	s_mov_b32 s5, 0xabe31927
	v_pk_fma_f32 v[0:1], v[2:3], v[0:1], s[4:5] op_sel_hi:[0,1,1]
	s_mov_b32 s4, 0x2b45373d
	;; [unrolled: 3-line block ×10, first 2 shown]
	s_mov_b32 s5, 0x3ded362a
	v_pk_fma_f32 v[0:1], v[2:3], v[0:1], s[4:5] op_sel_hi:[0,1,1]
	buffer_store_dword v0, off, s[0:3], s32 offset:392 ; 4-byte Folded Spill
	s_nop 0
	buffer_store_dword v1, off, s[0:3], s32 offset:396 ; 4-byte Folded Spill
	buffer_store_dword v2, off, s[0:3], s32 offset:400 ; 4-byte Folded Spill
	buffer_store_dword v3, off, s[0:3], s32 offset:404 ; 4-byte Folded Spill
	buffer_store_dword v4, off, s[0:3], s32 offset:408 ; 4-byte Folded Spill
	buffer_store_dword v5, off, s[0:3], s32 offset:412 ; 4-byte Folded Spill
	buffer_store_dword v6, off, s[0:3], s32 offset:416 ; 4-byte Folded Spill
	v_mov_b32_e32 v1, 0xa954e934
	s_mov_b32 s4, 0x29fcf12e
	v_mov_b32_e32 v0, 0x2989e793
	s_mov_b32 s5, 0xad3042c6
	s_mov_b32 s24, 0xbe405aee
	;; [unrolled: 1-line block ×3, first 2 shown]
	v_fmac_f32_e32 v1, 0x2950b415, v2
	v_pk_fma_f32 v[0:1], v[2:3], v[0:1], s[4:5] op_sel_hi:[0,1,1]
	s_mov_b32 s4, 0xad1f3a81
	s_mov_b32 s5, 0x2e859230
	v_pk_fma_f32 v[0:1], v[2:3], v[0:1], s[4:5] op_sel_hi:[0,1,1]
	s_mov_b32 s4, 0xae524e41
	s_mov_b32 s5, 0x30d8bcf1
	;; [unrolled: 3-line block ×10, first 2 shown]
	v_pk_fma_f32 v[4:5], v[2:3], v[0:1], s[4:5] op_sel_hi:[0,1,1]
	buffer_store_dword v2, off, s[0:3], s32 offset:448 ; 4-byte Folded Spill
	s_nop 0
	buffer_store_dword v3, off, s[0:3], s32 offset:452 ; 4-byte Folded Spill
	buffer_store_dword v4, off, s[0:3], s32 offset:456 ; 4-byte Folded Spill
	;; [unrolled: 1-line block ×6, first 2 shown]
	v_mov_b32_e32 v0, 0xa455b366
	v_mov_b32_e32 v3, 0x2634d615
	;; [unrolled: 1-line block ×3, first 2 shown]
	s_mov_b32 s4, 0x2a53d0e5
	s_mov_b32 s5, 0x2a06836f
	v_fmac_f32_e32 v0, 0x22564758, v2
	v_fmac_f32_e32 v3, v2, v0
	v_fmac_f32_e32 v1, v2, v3
	v_mov_b32_e32 v3, 0x262b4edc
	v_fmac_f32_e32 v3, 0xa4417dfb, v2
	v_mov_b32_e32 v0, 0xa84ef2f0
	v_fmac_f32_e32 v0, v2, v3
	v_pk_fma_f32 v[0:1], v[2:3], v[0:1], s[4:5] op_sel_hi:[0,1,1]
	s_mov_b32 s4, 0xac29d6bc
	s_mov_b32 s5, 0xabccc660
	v_pk_fma_f32 v[0:1], v[2:3], v[0:1], s[4:5] op_sel_hi:[0,1,1]
	s_mov_b32 s4, 0x2e144ec8
	s_mov_b32 s5, 0x2d9055f8
	;; [unrolled: 3-line block ×10, first 2 shown]
	v_pk_fma_f32 v[20:21], v[2:3], v[0:1], s[4:5] op_sel_hi:[0,1,1]
	v_mov_b32_e32 v0, 0x29ea7905
	v_fmac_f32_e32 v0, 0xa7e03286, v2
	v_mov_b32_e32 v1, 0xab4098d2
	v_fmac_f32_e32 v1, v2, v0
	;; [unrolled: 2-line block ×3, first 2 shown]
	v_mov_b32_e32 v1, 0xafe71d52
	v_div_scale_f32 v3, s[4:5], v16, v16, s24
	v_fmac_f32_e32 v1, v2, v0
	v_mov_b32_e32 v0, 0x31d8074a
	v_rcp_f32_e32 v4, v3
	v_fmac_f32_e32 v0, v2, v1
	v_mov_b32_e32 v1, 0xb3b26518
	v_fmac_f32_e32 v1, v2, v0
	v_mov_b32_e32 v0, 0x35b6103b
	v_fmac_f32_e32 v0, v2, v1
	v_mov_b32_e32 v1, 0xb7ae89be
	v_fmac_f32_e32 v1, v2, v0
	v_fma_f32 v0, -v3, v4, 1.0
	v_fmac_f32_e32 v4, v0, v4
	v_div_scale_f32 v0, vcc, s24, v16, s24
	v_mul_f32_e32 v5, v0, v4
	v_fma_f32 v6, -v3, v5, v0
	v_fmac_f32_e32 v5, v6, v4
	v_fma_f32 v0, -v3, v5, v0
	v_div_fmas_f32 v0, v0, v4, v5
	v_div_fixup_f32 v0, v0, v16, s24
	v_add_f32_e32 v0, 0x3e6b6fc1, v0
	v_div_scale_f32 v3, s[4:5], v16, v16, v0
	v_rcp_f32_e32 v4, v3
	v_mov_b32_e32 v5, 0x3984541e
	v_fmac_f32_e32 v5, v2, v1
	v_mov_b32_e32 v1, 0xbb40fe3a
	v_fma_f32 v6, -v3, v4, 1.0
	v_fmac_f32_e32 v4, v6, v4
	v_div_scale_f32 v6, vcc, v0, v16, v0
	v_mul_f32_e32 v7, v6, v4
	v_fma_f32 v8, -v3, v7, v6
	v_fmac_f32_e32 v7, v8, v4
	v_fma_f32 v3, -v3, v7, v6
	v_div_fmas_f32 v3, v3, v4, v7
	v_div_fixup_f32 v0, v3, v16, v0
	v_add_f32_e32 v0, 0xbeff74bd, v0
	v_div_scale_f32 v3, s[4:5], v16, v16, v0
	v_rcp_f32_e32 v4, v3
	v_fmac_f32_e32 v1, v2, v5
	v_mov_b32_e32 v7, 0x3d7654f6
	v_fmac_f32_e32 v7, v2, v1
	v_fma_f32 v1, -v3, v4, 1.0
	v_fmac_f32_e32 v4, v1, v4
	v_div_scale_f32 v1, vcc, v0, v16, v0
	v_mul_f32_e32 v2, v1, v4
	v_fma_f32 v5, -v3, v2, v1
	v_fmac_f32_e32 v2, v5, v4
	v_fma_f32 v1, -v3, v2, v1
	v_mul_f32_e32 v3, 0xbfb8aa3b, v16
	s_mov_b32 s4, 0xbfb8aa3b
	v_rndne_f32_e32 v5, v3
	v_sub_f32_e32 v6, v3, v5
	v_fma_f32 v3, v16, s4, -v3
	v_fmac_f32_e32 v3, 0xb2a5705f, v16
	v_add_f32_e32 v3, v6, v3
	v_exp_f32_e32 v3, v3
	v_cvt_i32_f32_e32 v5, v5
	v_div_fmas_f32 v1, v1, v4, v2
	v_div_scale_f32 v2, s[4:5], v16, v16, s25
	v_div_fixup_f32 v0, v1, v16, v0
	v_ldexp_f32 v1, v3, v5
	v_rcp_f32_e32 v3, v2
	s_mov_b32 s24, 0x42ce8ed0
	v_cmp_nlt_f32_e32 vcc, s24, v16
	v_cndmask_b32_e32 v1, 0, v1, vcc
	v_fma_f32 v4, -v2, v3, 1.0
	v_fmac_f32_e32 v3, v4, v3
	v_div_scale_f32 v4, vcc, s25, v16, s25
	v_mul_f32_e32 v5, v4, v3
	v_fma_f32 v6, -v2, v5, v4
	v_fmac_f32_e32 v5, v6, v3
	v_fma_f32 v2, -v2, v5, v4
	v_div_fmas_f32 v2, v2, v3, v5
	v_div_fixup_f32 v2, v2, v16, s25
	s_mov_b32 s5, 0xf800000
	v_mul_f32_e32 v3, 0x4f800000, v2
	v_cmp_gt_f32_e32 vcc, s5, v2
	v_cndmask_b32_e32 v2, v2, v3, vcc
	v_sqrt_f32_e32 v3, v2
	s_mov_b32 s4, 0xc2b17218
	v_mov_b32_e32 v4, 0x7f800000
	v_cmp_ngt_f32_e64 s[4:5], s4, v16
	v_cndmask_b32_e64 v1, v4, v1, s[4:5]
	v_add_u32_e32 v4, -1, v3
	v_fma_f32 v5, -v4, v3, v2
	v_cmp_ge_f32_e64 s[4:5], 0, v5
	v_add_u32_e32 v5, 1, v3
	v_cndmask_b32_e64 v4, v3, v4, s[4:5]
	v_fma_f32 v3, -v5, v3, v2
	v_cmp_lt_f32_e64 s[4:5], 0, v3
	v_cndmask_b32_e64 v3, v4, v5, s[4:5]
	v_mul_f32_e32 v4, 0x37800000, v3
	v_cndmask_b32_e32 v3, v3, v4, vcc
	v_mov_b32_e32 v4, 0x260
	v_cmp_class_f32_e32 vcc, v2, v4
	v_add_f32_e32 v0, 0xb7b7d95a, v0
	v_cndmask_b32_e32 v2, v3, v2, vcc
	v_fmac_f32_e32 v2, v1, v0
	v_sub_f32_e32 v0, v2, v21
	v_sub_f32_e32 v0, v0, v20
	;; [unrolled: 1-line block ×3, first 2 shown]
                                        ; implicit-def: $vgpr16
.LBB0_57:
	s_andn2_saveexec_b64 s[24:25], s[6:7]
	s_cbranch_execz .LBB0_75
; %bb.58:
	s_mov_b32 s4, 0x41a00000
	v_cmp_ge_f32_e32 vcc, s4, v16
                                        ; implicit-def: $vgpr2_vgpr3
                                        ; implicit-def: $vgpr7
                                        ; implicit-def: $vgpr20_vgpr21
	buffer_store_dword v0, off, s[0:3], s32 offset:448 ; 4-byte Folded Spill
	s_nop 0
	buffer_store_dword v1, off, s[0:3], s32 offset:452 ; 4-byte Folded Spill
	buffer_store_dword v2, off, s[0:3], s32 offset:456 ; 4-byte Folded Spill
	;; [unrolled: 1-line block ×6, first 2 shown]
	s_and_saveexec_b64 s[4:5], vcc
	s_xor_b64 s[6:7], exec, s[4:5]
                                        ; implicit-def: $vgpr0_vgpr1_vgpr2_vgpr3_vgpr4_vgpr5_vgpr6
                                        ; kill: killed $vgpr0_vgpr1_vgpr2_vgpr3_vgpr4_vgpr5_vgpr6
	s_cbranch_execz .LBB0_60
; %bb.59:
	s_mov_b32 s26, 0x3f490fdb
	v_div_scale_f32 v0, s[4:5], v16, v16, s26
	v_rcp_f32_e32 v1, v0
	v_div_scale_f32 v2, vcc, s26, v16, s26
	s_mov_b32 s4, 0xf800000
	v_fma_f32 v3, -v0, v1, 1.0
	v_fmac_f32_e32 v1, v3, v1
	v_mul_f32_e32 v3, v2, v1
	v_fma_f32 v4, -v0, v3, v2
	v_fmac_f32_e32 v3, v4, v1
	v_fma_f32 v0, -v0, v3, v2
	v_div_fmas_f32 v0, v0, v1, v3
	v_div_fixup_f32 v0, v0, v16, s26
	v_mul_f32_e32 v1, 0x4f800000, v0
	v_cmp_gt_f32_e32 vcc, s4, v0
	v_cndmask_b32_e32 v0, v0, v1, vcc
	v_sqrt_f32_e32 v1, v0
	v_add_f32_e32 v4, 0xc18c0000, v16
	s_mov_b32 s26, 0x3e48f136
	v_add_u32_e32 v2, -1, v1
	v_fma_f32 v3, -v2, v1, v0
	v_cmp_ge_f32_e64 s[4:5], 0, v3
	v_add_u32_e32 v3, 1, v1
	v_cndmask_b32_e64 v2, v1, v2, s[4:5]
	v_fma_f32 v1, -v3, v1, v0
	v_cmp_lt_f32_e64 s[4:5], 0, v1
	v_cndmask_b32_e64 v1, v2, v3, s[4:5]
	v_mul_f32_e32 v2, 0x37800000, v1
	v_cndmask_b32_e32 v1, v1, v2, vcc
	v_mov_b32_e32 v2, 0x260
	v_cmp_class_f32_e32 vcc, v0, v2
	v_cndmask_b32_e32 v2, v1, v0, vcc
	v_mov_b32_e32 v0, 0xa5021e92
	v_mov_b32_e32 v1, 0xa5964d55
	s_mov_b32 s4, 0xa7dd9259
	v_fmac_f32_e32 v0, 0x244964a5, v4
	v_fmac_f32_e32 v1, 0x260fcd4b, v4
	s_mov_b32 s5, 0xa9af14ba
	v_pk_fma_f32 v[0:1], v[4:5], v[0:1], s[4:5] op_sel_hi:[0,1,1]
	s_mov_b32 s4, 0x29830f5a
	s_mov_b32 s5, 0x2b224d2b
	v_pk_fma_f32 v[0:1], v[4:5], v[0:1], s[4:5] op_sel_hi:[0,1,1]
	s_mov_b32 s4, 0x2af781ba
	;; [unrolled: 3-line block ×10, first 2 shown]
	s_mov_b32 s5, 0x3da92b45
	v_pk_fma_f32 v[0:1], v[4:5], v[0:1], s[4:5] op_sel_hi:[0,1,1]
	buffer_store_dword v0, off, s[0:3], s32 offset:392 ; 4-byte Folded Spill
	s_nop 0
	buffer_store_dword v1, off, s[0:3], s32 offset:396 ; 4-byte Folded Spill
	buffer_store_dword v2, off, s[0:3], s32 offset:400 ; 4-byte Folded Spill
	;; [unrolled: 1-line block ×6, first 2 shown]
	v_mov_b32_e32 v0, 0x28861042
	v_mov_b32_e32 v1, 0xa9fd4a43
	s_mov_b32 s4, 0xaaf30573
	s_mov_b32 s5, 0x2c46e7a4
	v_fmac_f32_e32 v0, 0x2709fd34, v4
	v_fmac_f32_e32 v1, 0xa7c3e343, v4
	v_pk_fma_f32 v[0:1], v[4:5], v[0:1], s[4:5] op_sel_hi:[0,1,1]
	s_mov_b32 s4, 0x2ba6fc04
	s_mov_b32 s5, 0xad5ed8a6
	v_pk_fma_f32 v[0:1], v[4:5], v[0:1], s[4:5] op_sel_hi:[0,1,1]
	s_mov_b32 s4, 0x2e4b015d
	s_mov_b32 s5, 0xafea2032
	;; [unrolled: 3-line block ×10, first 2 shown]
	v_pk_fma_f32 v[6:7], v[4:5], v[0:1], s[4:5] op_sel_hi:[0,1,1]
	buffer_store_dword v4, off, s[0:3], s32 offset:448 ; 4-byte Folded Spill
	s_nop 0
	buffer_store_dword v5, off, s[0:3], s32 offset:452 ; 4-byte Folded Spill
	buffer_store_dword v6, off, s[0:3], s32 offset:456 ; 4-byte Folded Spill
	;; [unrolled: 1-line block ×6, first 2 shown]
	v_mov_b32_e32 v0, 0x230b0101
	v_mov_b32_e32 v1, 0xa5056e00
	s_mov_b32 s4, 0x28730492
	s_mov_b32 s5, 0x272dbeb2
	v_fmac_f32_e32 v0, 0xa15f6467, v4
	v_fmac_f32_e32 v1, v4, v0
	v_mov_b32_e32 v0, 0x259aec42
	v_fmac_f32_e32 v0, 0xa47fb206, v4
	v_pk_fma_f32 v[0:1], v[4:5], v[0:1], s[4:5] op_sel_hi:[0,1,1]
	s_mov_b32 s4, 0xaa8d2834
	s_mov_b32 s5, 0xa92235dd
	v_pk_fma_f32 v[0:1], v[4:5], v[0:1], s[4:5] op_sel_hi:[0,1,1]
	s_mov_b32 s4, 0x2c08d21c
	s_mov_b32 s5, 0x2ae5cdfe
	;; [unrolled: 3-line block ×10, first 2 shown]
	v_pk_fma_f32 v[20:21], v[4:5], v[0:1], s[4:5] op_sel_hi:[0,1,1]
	v_mov_b32_e32 v0, 0x26a8205b
	v_fmac_f32_e32 v0, 0xa55706df, v4
	v_mov_b32_e32 v1, 0x28e6eb32
	v_fmac_f32_e32 v1, v4, v0
	v_mov_b32_e32 v0, 0xaafd3c12
	v_fmac_f32_e32 v0, v4, v1
	v_mov_b32_e32 v1, 0x2bf86dd2
	v_fmac_f32_e32 v1, v4, v0
	v_mov_b32_e32 v0, 0x2d1f1e53
	v_div_scale_f32 v3, s[4:5], v16, v16, s26
	v_fmac_f32_e32 v0, v4, v1
	v_mov_b32_e32 v1, 0x3009251a
	v_rcp_f32_e32 v5, v3
	v_fmac_f32_e32 v1, v4, v0
	v_mov_b32_e32 v0, 0xb2b6136a
	v_fmac_f32_e32 v0, v4, v1
	v_mov_b32_e32 v1, 0x34d5d550
	;; [unrolled: 2-line block ×3, first 2 shown]
	v_fmac_f32_e32 v0, v4, v1
	v_fma_f32 v1, -v3, v5, 1.0
	v_fmac_f32_e32 v5, v1, v5
	v_div_scale_f32 v1, vcc, s26, v16, s26
	v_mul_f32_e32 v6, v1, v5
	v_fma_f32 v7, -v3, v6, v1
	v_fmac_f32_e32 v6, v7, v5
	v_fma_f32 v1, -v3, v6, v1
	v_div_fmas_f32 v1, v1, v5, v6
	v_div_fixup_f32 v1, v1, v16, s26
	v_add_f32_e32 v3, 0xbefe708c, v1
	v_div_scale_f32 v5, s[4:5], v16, v16, v3
	v_rcp_f32_e32 v6, v5
	v_mov_b32_e32 v1, 0x38a2554e
	v_fmac_f32_e32 v1, v4, v0
	s_mov_b32 s4, 0xbfb8aa3b
	v_fma_f32 v0, -v5, v6, 1.0
	v_fmac_f32_e32 v6, v0, v6
	v_div_scale_f32 v0, vcc, v3, v16, v3
	v_mul_f32_e32 v7, v0, v6
	v_fma_f32 v8, -v5, v7, v0
	v_fmac_f32_e32 v7, v8, v6
	v_fma_f32 v0, -v5, v7, v0
	v_mul_f32_e32 v5, 0xbfb8aa3b, v16
	v_rndne_f32_e32 v8, v5
	v_sub_f32_e32 v9, v5, v8
	v_fma_f32 v5, v16, s4, -v5
	v_fmac_f32_e32 v5, 0xb2a5705f, v16
	v_add_f32_e32 v5, v9, v5
	v_exp_f32_e32 v5, v5
	v_cvt_i32_f32_e32 v8, v8
	v_div_fmas_f32 v0, v0, v6, v7
	s_mov_b32 s4, 0x42ce8ed0
	v_div_fixup_f32 v0, v0, v16, v3
	v_ldexp_f32 v3, v5, v8
	v_cmp_nlt_f32_e32 vcc, s4, v16
	s_mov_b32 s4, 0xc2b17218
	v_cndmask_b32_e32 v3, 0, v3, vcc
	v_cmp_ngt_f32_e32 vcc, s4, v16
	s_mov_b32 s4, 0xb87c50a3
	v_mul_f32_e32 v1, v4, v1
	v_mov_b32_e32 v5, 0x7f800000
	s_mov_b32 s5, 0xbac24051
	v_cndmask_b32_e32 v6, v5, v3, vcc
	v_pk_add_f32 v[0:1], v[0:1], s[4:5]
	v_mov_b32_e32 v7, v4
	v_mov_b32_e32 v3, 0x3d4be9ee
	v_pk_fma_f32 v[6:7], v[6:7], v[0:1], v[2:3]
	v_sub_f32_e32 v0, v6, v7
	v_sub_f32_e32 v0, v0, v20
	;; [unrolled: 1-line block ×3, first 2 shown]
                                        ; implicit-def: $vgpr16
.LBB0_60:
	s_andn2_saveexec_b64 s[26:27], s[6:7]
	s_cbranch_execz .LBB0_74
; %bb.61:
	s_mov_b32 s4, 0x420c0000
	v_cmp_ge_f32_e32 vcc, s4, v16
                                        ; implicit-def: $vgpr2_vgpr3
                                        ; implicit-def: $vgpr7
                                        ; implicit-def: $vgpr20_vgpr21
	buffer_store_dword v0, off, s[0:3], s32 offset:448 ; 4-byte Folded Spill
	s_nop 0
	buffer_store_dword v1, off, s[0:3], s32 offset:452 ; 4-byte Folded Spill
	buffer_store_dword v2, off, s[0:3], s32 offset:456 ; 4-byte Folded Spill
	;; [unrolled: 1-line block ×6, first 2 shown]
	s_and_saveexec_b64 s[4:5], vcc
	s_xor_b64 s[6:7], exec, s[4:5]
                                        ; implicit-def: $vgpr0_vgpr1_vgpr2_vgpr3_vgpr4_vgpr5_vgpr6
                                        ; kill: killed $vgpr0_vgpr1_vgpr2_vgpr3_vgpr4_vgpr5_vgpr6
	s_cbranch_execz .LBB0_67
; %bb.62:
	s_mov_b32 s4, 0x41c80000
	v_cmp_ge_f32_e32 vcc, s4, v16
                                        ; implicit-def: $vgpr7
	s_and_saveexec_b64 s[4:5], vcc
	s_xor_b64 s[4:5], exec, s[4:5]
	s_cbranch_execz .LBB0_64
; %bb.63:
	v_mov_b32_e32 v0, 0xb82007dc
	s_mov_b32 s30, 0x4681b030
	v_fmac_f32_e32 v0, 0x347b012a, v16
	v_mov_b32_e32 v1, 0x3b664dec
	v_div_scale_f32 v2, s[28:29], v16, v16, s30
	v_fmac_f32_e32 v1, v16, v0
	v_mov_b32_e32 v0, 0xbe2a8916
	v_rcp_f32_e32 v3, v2
	v_fmac_f32_e32 v0, v16, v1
	v_mov_b32_e32 v1, 0x40999a1a
	v_fmac_f32_e32 v1, v16, v0
	v_mov_b32_e32 v0, 0xc2aea219
	;; [unrolled: 2-line block ×3, first 2 shown]
	v_fmac_f32_e32 v1, v16, v0
	v_fma_f32 v0, -v2, v3, 1.0
	v_fmac_f32_e32 v3, v0, v3
	v_div_scale_f32 v0, vcc, s30, v16, s30
	v_mul_f32_e32 v4, v0, v3
	v_fma_f32 v5, -v2, v4, v0
	v_fmac_f32_e32 v4, v5, v3
	v_fma_f32 v0, -v2, v4, v0
	v_div_fmas_f32 v0, v0, v3, v4
	v_div_fixup_f32 v0, v0, v16, s30
	v_fmac_f32_e32 v0, v16, v1
	v_add_f32_e32 v7, 0xc5c00653, v0
.LBB0_64:
	s_andn2_saveexec_b64 s[4:5], s[4:5]
	s_cbranch_execz .LBB0_66
; %bb.65:
	v_mov_b32_e32 v0, 0xb89f1e53
	v_fmac_f32_e32 v0, 0x36c0af5a, v16
	v_mov_b32_e32 v1, 0x39767de4
	v_fmac_f32_e32 v1, v16, v0
	;; [unrolled: 2-line block ×6, first 2 shown]
.LBB0_66:
	s_or_b64 exec, exec, s[4:5]
	s_mov_b32 s28, 0x3f490fdb
	v_div_scale_f32 v0, s[4:5], v16, v16, s28
	v_rcp_f32_e32 v1, v0
	v_div_scale_f32 v2, vcc, s28, v16, s28
	s_mov_b32 s4, 0xf800000
	v_fma_f32 v3, -v0, v1, 1.0
	v_fmac_f32_e32 v1, v3, v1
	v_mul_f32_e32 v3, v2, v1
	v_fma_f32 v4, -v0, v3, v2
	v_fmac_f32_e32 v3, v4, v1
	v_fma_f32 v0, -v0, v3, v2
	v_div_fmas_f32 v0, v0, v1, v3
	v_div_fixup_f32 v0, v0, v16, s28
	v_mul_f32_e32 v1, 0x4f800000, v0
	v_cmp_gt_f32_e32 vcc, s4, v0
	v_cndmask_b32_e32 v0, v0, v1, vcc
	v_sqrt_f32_e32 v1, v0
	s_mov_b32 s30, 0xce7434c4
	v_mov_b32_e32 v8, 0xbe72a452
	v_mov_b32_e32 v9, 0x40cb68be
	v_add_u32_e32 v2, -1, v1
	v_fma_f32 v3, -v2, v1, v0
	v_cmp_ge_f32_e64 s[4:5], 0, v3
	v_add_u32_e32 v3, 1, v1
	v_cndmask_b32_e64 v2, v1, v2, s[4:5]
	v_fma_f32 v1, -v3, v1, v0
	v_cmp_lt_f32_e64 s[4:5], 0, v1
	v_cndmask_b32_e64 v1, v2, v3, s[4:5]
	v_mul_f32_e32 v2, 0x37800000, v1
	v_cndmask_b32_e32 v1, v1, v2, vcc
	v_mul_f32_e32 v2, 0xbfb8aa3b, v16
	s_mov_b32 s4, 0xbfb8aa3b
	v_rndne_f32_e32 v3, v2
	v_sub_f32_e32 v4, v2, v3
	v_fma_f32 v2, v16, s4, -v2
	v_fmac_f32_e32 v2, 0xb2a5705f, v16
	v_add_f32_e32 v2, v4, v2
	v_exp_f32_e32 v4, v2
	v_cvt_i32_f32_e32 v3, v3
	v_mov_b32_e32 v2, 0x260
	v_cmp_class_f32_e32 vcc, v0, v2
	v_cndmask_b32_e32 v2, v1, v0, vcc
	v_ldexp_f32 v0, v4, v3
	v_div_scale_f32 v3, s[28:29], v16, v16, s30
	v_rcp_f32_e32 v5, v3
	s_mov_b32 s4, 0x42ce8ed0
	v_cmp_nlt_f32_e32 vcc, s4, v16
	s_mov_b32 s4, 0xc2b17218
	v_cndmask_b32_e32 v0, 0, v0, vcc
	v_mov_b32_e32 v1, 0x7f800000
	v_cmp_ngt_f32_e32 vcc, s4, v16
	v_fma_f32 v6, -v3, v5, 1.0
	v_cndmask_b32_e32 v4, v1, v0, vcc
	v_fmac_f32_e32 v5, v6, v5
	v_div_scale_f32 v6, vcc, s30, v16, s30
	v_mul_f32_e32 v10, v6, v5
	v_fma_f32 v11, -v3, v10, v6
	v_fmac_f32_e32 v10, v11, v5
	v_fma_f32 v3, -v3, v10, v6
	v_div_fmas_f32 v3, v3, v5, v10
	v_div_fixup_f32 v3, v3, v16, s30
	v_add_f32_e32 v3, 0x4db07acc, v3
	v_div_scale_f32 v5, s[28:29], v16, v16, v3
	v_rcp_f32_e32 v6, v5
	s_mov_b32 s30, 0x4a194e71
	v_mov_b32_e32 v0, 0x3aa6cffa
	s_mov_b32 s4, 0xbe14ca72
	v_fma_f32 v10, -v5, v6, 1.0
	v_fmac_f32_e32 v6, v10, v6
	v_div_scale_f32 v10, vcc, v3, v16, v3
	v_mul_f32_e32 v11, v10, v6
	v_fma_f32 v12, -v5, v11, v10
	v_fmac_f32_e32 v11, v12, v6
	v_fma_f32 v5, -v5, v11, v10
	v_div_scale_f32 v10, s[28:29], v16, v16, s30
	v_rcp_f32_e32 v12, v10
	v_div_fmas_f32 v5, v5, v6, v11
	v_div_fixup_f32 v11, v5, v16, v3
	v_fmac_f32_e32 v0, 0xb83af1e6, v16
	v_fma_f32 v3, -v10, v12, 1.0
	v_fmac_f32_e32 v12, v3, v12
	v_div_scale_f32 v3, vcc, s30, v16, s30
	v_mul_f32_e32 v5, v3, v12
	v_fma_f32 v6, -v10, v5, v3
	v_fmac_f32_e32 v5, v6, v12
	v_fma_f32 v3, -v10, v5, v3
	v_div_fmas_f32 v3, v3, v12, v5
	s_mov_b32 s5, 0xbfab678a
	v_div_fixup_f32 v10, v3, v16, s30
	s_mov_b32 s29, 0xcc5ff7d7
	v_fmac_f32_e32 v8, v16, v0
	v_pk_add_f32 v[0:1], v[16:17], s[4:5] op_sel_hi:[0,1]
	s_mov_b32 s4, 0x4176edd6
	v_pk_add_f32 v[12:13], v[10:11], s[28:29]
	v_fmac_f32_e32 v9, 0xbda0e4fa, v16
	s_mov_b32 s5, 0xc3a92602
	v_div_scale_f32 v3, s[28:29], v16, v16, v13
	v_pk_fma_f32 v[8:9], v[16:17], v[8:9], s[4:5] op_sel_hi:[0,1,1]
	s_mov_b32 s4, 0xc402b325
	v_rcp_f32_e32 v5, v3
	s_mov_b32 s5, 0x46438033
	v_pk_fma_f32 v[8:9], v[16:17], v[8:9], s[4:5] op_sel_hi:[0,1,1]
	s_mov_b32 s4, 0x46258c7d
	s_mov_b32 s5, 0xc89ab5f2
	v_pk_fma_f32 v[8:9], v[16:17], v[8:9], s[4:5] op_sel_hi:[0,1,1]
	s_mov_b32 s4, 0x495520f6
	v_fma_f32 v6, -v3, v5, 1.0
	v_pk_add_f32 v[10:11], v[10:11], s[4:5] neg_lo:[1,0] neg_hi:[1,0]
	v_fmac_f32_e32 v5, v6, v5
	v_div_scale_f32 v6, vcc, v13, v16, v13
	v_mul_f32_e32 v11, v6, v5
	v_fma_f32 v12, -v3, v11, v6
	v_fmac_f32_e32 v11, v12, v5
	v_fma_f32 v3, -v3, v11, v6
	v_div_scale_f32 v6, s[4:5], v16, v16, v10
	v_rcp_f32_e32 v12, v6
	v_div_fmas_f32 v3, v3, v5, v11
	v_div_fixup_f32 v11, v3, v16, v13
	s_mov_b32 s28, 0x3fab678a
	v_fma_f32 v3, -v6, v12, 1.0
	v_fmac_f32_e32 v12, v3, v12
	v_div_scale_f32 v3, vcc, v10, v16, v10
	v_mul_f32_e32 v5, v3, v12
	v_fma_f32 v13, -v6, v5, v3
	v_fmac_f32_e32 v5, v13, v12
	v_fma_f32 v3, -v6, v5, v3
	v_div_fmas_f32 v3, v3, v12, v5
	v_div_fixup_f32 v10, v3, v16, v10
	v_div_scale_f32 v3, s[4:5], v1, v1, s28
	v_rcp_f32_e32 v5, v3
	v_pk_fma_f32 v[8:9], v[16:17], v[8:9], v[10:11] op_sel_hi:[0,1,1]
	s_mov_b32 s4, 0xc7fc5531
	s_mov_b32 s5, 0x4aa45f3c
	v_fma_f32 v6, -v3, v5, 1.0
	v_fmac_f32_e32 v5, v6, v5
	v_div_scale_f32 v6, vcc, s28, v1, s28
	v_mul_f32_e32 v10, v6, v5
	v_fma_f32 v11, -v3, v10, v6
	v_fmac_f32_e32 v10, v11, v5
	s_mov_b32 s29, 0x3e14ca72
	v_pk_add_f32 v[8:9], v[8:9], s[4:5]
	v_fma_f32 v3, -v3, v10, v6
	v_div_scale_f32 v6, s[4:5], v0, v0, s29
	v_rcp_f32_e32 v11, v6
	v_div_fmas_f32 v3, v3, v5, v10
	v_div_fixup_f32 v1, v3, v1, s28
	s_mov_b32 s28, 0xcf2bbe86
	v_fma_f32 v3, -v6, v11, 1.0
	v_fmac_f32_e32 v11, v3, v11
	v_div_scale_f32 v3, vcc, s29, v0, s29
	v_mul_f32_e32 v5, v3, v11
	v_fma_f32 v10, -v6, v5, v3
	v_fmac_f32_e32 v5, v10, v11
	v_fma_f32 v3, -v6, v5, v3
	v_div_fmas_f32 v3, v3, v11, v5
	v_div_fixup_f32 v0, v3, v0, s29
	v_div_scale_f32 v3, s[4:5], v16, v16, s28
	v_rcp_f32_e32 v5, v3
	s_mov_b32 s4, 0xc07b535f
	s_mov_b32 s5, 0xc1096b0d
	;; [unrolled: 1-line block ×3, first 2 shown]
	v_pk_fma_f32 v[0:1], v[4:5], v[8:9], v[0:1] op_sel_hi:[0,1,1]
	buffer_store_dword v0, off, s[0:3], s32 offset:392 ; 4-byte Folded Spill
	s_nop 0
	buffer_store_dword v1, off, s[0:3], s32 offset:396 ; 4-byte Folded Spill
	buffer_store_dword v2, off, s[0:3], s32 offset:400 ; 4-byte Folded Spill
	;; [unrolled: 1-line block ×6, first 2 shown]
	v_mov_b32_e32 v0, 0x41934c39
	v_fmac_f32_e32 v0, 0xbe739c2f, v16
	s_mov_b32 s30, 0x4c46ea5e
	v_fma_f32 v1, -v3, v5, 1.0
	v_fmac_f32_e32 v5, v1, v5
	v_div_scale_f32 v1, vcc, s28, v16, s28
	v_mul_f32_e32 v6, v1, v5
	v_fma_f32 v8, -v3, v6, v1
	v_fmac_f32_e32 v6, v8, v5
	v_fma_f32 v1, -v3, v6, v1
	v_div_fmas_f32 v1, v1, v5, v6
	v_div_fixup_f32 v1, v1, v16, s28
	v_mov_b32_e32 v5, 0xbeba9d10
	v_add_f32_e32 v3, 0x4e7e374b, v1
	v_pk_add_f32 v[8:9], v[16:17], s[4:5] op_sel_hi:[0,1]
	v_fmac_f32_e32 v5, 0xba1d77bb, v16
	v_mov_b32_e32 v1, 0x417bfe6a
	s_mov_b32 s4, 0xc47a8078
	v_fmac_f32_e32 v1, v16, v5
	s_mov_b32 s5, 0xc423bc6f
	v_pk_fma_f32 v[0:1], v[16:17], v[0:1], s[4:5] op_sel_hi:[0,1,1]
	v_div_scale_f32 v5, s[4:5], v16, v16, v3
	v_rcp_f32_e32 v6, v5
	s_mov_b32 s4, 0x47128b2f
	s_mov_b32 s5, 0x46857602
	;; [unrolled: 1-line block ×3, first 2 shown]
	v_fma_f32 v10, -v5, v6, 1.0
	v_fmac_f32_e32 v6, v10, v6
	v_div_scale_f32 v10, vcc, v3, v16, v3
	v_mul_f32_e32 v11, v10, v6
	v_fma_f32 v12, -v5, v11, v10
	v_pk_fma_f32 v[0:1], v[16:17], v[0:1], s[4:5] op_sel_hi:[0,1,1]
	v_fmac_f32_e32 v11, v12, v6
	v_div_scale_f32 v12, s[4:5], v16, v16, s28
	v_rcp_f32_e32 v13, v12
	v_fma_f32 v5, -v5, v11, v10
	v_div_fmas_f32 v5, v5, v6, v11
	v_div_fixup_f32 v10, v5, v16, v3
	v_fma_f32 v3, -v12, v13, 1.0
	v_fmac_f32_e32 v13, v3, v13
	v_div_scale_f32 v3, vcc, s28, v16, s28
	v_mul_f32_e32 v5, v3, v13
	v_fma_f32 v6, -v12, v5, v3
	v_fmac_f32_e32 v5, v6, v13
	v_fma_f32 v3, -v12, v5, v3
	v_div_fmas_f32 v3, v3, v13, v5
	s_mov_b32 s4, 0xcd2479c9
	v_div_fixup_f32 v11, v3, v16, s28
	s_mov_b32 s5, 0xcb7baf74
	v_pk_add_f32 v[10:11], v[10:11], s[4:5]
	v_div_scale_f32 v3, s[4:5], v16, v16, v11
	v_rcp_f32_e32 v5, v3
	s_mov_b32 s4, 0xc968162b
	s_mov_b32 s5, 0xc88ddabe
	v_pk_fma_f32 v[0:1], v[16:17], v[0:1], s[4:5] op_sel_hi:[0,1,1]
	v_fma_f32 v6, -v3, v5, 1.0
	v_fmac_f32_e32 v5, v6, v5
	v_div_scale_f32 v6, vcc, v11, v16, v11
	v_mul_f32_e32 v12, v6, v5
	v_fma_f32 v13, -v3, v12, v6
	v_fmac_f32_e32 v12, v13, v5
	v_fma_f32 v3, -v3, v12, v6
	v_div_scale_f32 v6, s[4:5], v16, v16, v10
	v_rcp_f32_e32 v13, v6
	v_div_fmas_f32 v3, v3, v5, v12
	v_div_fixup_f32 v11, v3, v16, v11
	s_mov_b32 s28, 0x41096b0d
	v_fma_f32 v3, -v6, v13, 1.0
	v_fmac_f32_e32 v13, v3, v13
	v_div_scale_f32 v3, vcc, v10, v16, v10
	v_mul_f32_e32 v5, v3, v13
	v_fma_f32 v12, -v6, v5, v3
	v_fmac_f32_e32 v5, v12, v13
	v_fma_f32 v3, -v6, v5, v3
	v_div_fmas_f32 v3, v3, v13, v5
	v_div_fixup_f32 v10, v3, v16, v10
	v_div_scale_f32 v3, s[4:5], v9, v9, s28
	v_rcp_f32_e32 v5, v3
	v_pk_fma_f32 v[0:1], v[16:17], v[0:1], v[10:11] op_sel_hi:[0,1,1]
	s_mov_b32 s4, 0x4b74c7d3
	s_mov_b32 s5, 0x4a3529ce
	v_fma_f32 v6, -v3, v5, 1.0
	v_fmac_f32_e32 v5, v6, v5
	v_div_scale_f32 v6, vcc, s28, v9, s28
	v_mul_f32_e32 v10, v6, v5
	v_fma_f32 v11, -v3, v10, v6
	v_fmac_f32_e32 v10, v11, v5
	v_pk_add_f32 v[0:1], v[0:1], s[4:5]
	v_fma_f32 v3, -v3, v10, v6
	v_div_scale_f32 v6, s[4:5], v8, v8, s29
	v_rcp_f32_e32 v11, v6
	v_div_fmas_f32 v3, v3, v5, v10
	v_div_fixup_f32 v9, v3, v9, s28
	s_mov_b32 s4, 0x3c9ddd0b
	v_fma_f32 v3, -v6, v11, 1.0
	v_fmac_f32_e32 v11, v3, v11
	v_div_scale_f32 v3, vcc, s29, v8, s29
	v_mul_f32_e32 v5, v3, v11
	v_fma_f32 v10, -v6, v5, v3
	v_fmac_f32_e32 v5, v10, v11
	v_fma_f32 v3, -v6, v5, v3
	v_div_fmas_f32 v3, v3, v11, v5
	v_div_fixup_f32 v8, v3, v8, s29
	v_pk_fma_f32 v[8:9], v[4:5], v[0:1], v[8:9] op_sel_hi:[0,1,1]
	buffer_store_dword v6, off, s[0:3], s32 offset:448 ; 4-byte Folded Spill
	s_nop 0
	buffer_store_dword v7, off, s[0:3], s32 offset:452 ; 4-byte Folded Spill
	buffer_store_dword v8, off, s[0:3], s32 offset:456 ; 4-byte Folded Spill
	;; [unrolled: 1-line block ×6, first 2 shown]
	v_div_scale_f32 v1, s[28:29], v16, v16, s30
	v_rcp_f32_e32 v3, v1
	v_mov_b32_e32 v0, 0xbc1634c4
	v_fmac_f32_e32 v0, 0x3977e039, v16
	v_mov_b32_e32 v5, 0x3eeca3b6
	v_fmac_f32_e32 v5, v16, v0
	v_fma_f32 v0, -v1, v3, 1.0
	v_fmac_f32_e32 v3, v0, v3
	v_div_scale_f32 v0, vcc, s30, v16, s30
	v_mul_f32_e32 v6, v0, v3
	v_fma_f32 v8, -v1, v6, v0
	v_fmac_f32_e32 v6, v8, v3
	v_fma_f32 v0, -v1, v6, v0
	v_div_fmas_f32 v0, v0, v3, v6
	v_div_fixup_f32 v0, v0, v16, s30
	v_add_f32_e32 v0, 0xcb4ca412, v0
	v_div_scale_f32 v1, s[28:29], v16, v16, v0
	v_rcp_f32_e32 v3, v1
	v_mov_b32_e32 v6, 0xc19d8e16
	v_fmac_f32_e32 v6, v16, v5
	v_mov_b32_e32 v5, 0x43f995a8
	v_fma_f32 v8, -v1, v3, 1.0
	v_fmac_f32_e32 v3, v8, v3
	v_div_scale_f32 v8, vcc, v0, v16, v0
	v_mul_f32_e32 v9, v8, v3
	v_fma_f32 v10, -v1, v9, v8
	v_fmac_f32_e32 v9, v10, v3
	v_fma_f32 v1, -v1, v9, v8
	v_div_fmas_f32 v1, v1, v3, v9
	v_div_fixup_f32 v0, v1, v16, v0
	v_add_f32_e32 v0, 0x498ac2e8, v0
	v_div_scale_f32 v1, s[28:29], v16, v16, v0
	v_rcp_f32_e32 v3, v1
	v_fmac_f32_e32 v5, v16, v6
	v_mov_b32_e32 v6, 0xc5c23196
	v_fmac_f32_e32 v6, v16, v5
	v_fma_f32 v5, -v1, v3, 1.0
	v_fmac_f32_e32 v3, v5, v3
	v_div_scale_f32 v5, vcc, v0, v16, v0
	v_mul_f32_e32 v8, v5, v3
	v_fma_f32 v9, -v1, v8, v5
	v_fmac_f32_e32 v8, v9, v3
	v_fma_f32 v1, -v1, v8, v5
	v_div_fmas_f32 v1, v1, v3, v8
	v_div_fixup_f32 v0, v1, v16, v0
	v_fmac_f32_e32 v0, v16, v6
	v_add_f32_e32 v6, 0xc52ff030, v0
	s_mov_b32 s5, 0x396c2b78
	s_mov_b32 s28, 0x4b6c15fd
	v_pk_mul_f32 v[0:1], v[4:5], v[6:7] op_sel_hi:[0,1]
	v_pk_fma_f32 v[20:21], v[2:3], s[4:5], v[0:1] op_sel_hi:[0,1,1]
	v_mov_b32_e32 v0, 0xbd10f50f
	v_fmac_f32_e32 v0, 0x3a3f52db, v16
	v_mov_b32_e32 v1, 0x4004fd88
	v_fmac_f32_e32 v1, v16, v0
	v_div_scale_f32 v0, s[4:5], v16, v16, s28
	v_rcp_f32_e32 v3, v0
	v_mov_b32_e32 v5, 0xc2c8edee
	v_fmac_f32_e32 v5, v16, v1
	v_mov_b32_e32 v1, 0x454500fa
	v_fma_f32 v6, -v0, v3, 1.0
	v_fmac_f32_e32 v3, v6, v3
	v_div_scale_f32 v6, vcc, s28, v16, s28
	v_mul_f32_e32 v7, v6, v3
	v_fma_f32 v8, -v0, v7, v6
	v_fmac_f32_e32 v7, v8, v3
	v_fma_f32 v0, -v0, v7, v6
	v_div_fmas_f32 v0, v0, v3, v7
	v_div_fixup_f32 v0, v0, v16, s28
	v_add_f32_e32 v0, 0xcaa08b90, v0
	v_div_scale_f32 v3, s[4:5], v16, v16, v0
	v_rcp_f32_e32 v6, v3
	v_fmac_f32_e32 v1, v16, v5
	v_mov_b32_e32 v5, 0xc774f179
	v_fmac_f32_e32 v5, v16, v1
	v_fma_f32 v1, -v3, v6, 1.0
	v_fmac_f32_e32 v6, v1, v6
	v_div_scale_f32 v1, vcc, v0, v16, v0
	v_mul_f32_e32 v7, v1, v6
	v_fma_f32 v8, -v3, v7, v1
	s_mov_b32 s28, 0x3e48f136
	v_fmac_f32_e32 v7, v8, v6
	v_div_scale_f32 v8, s[4:5], v16, v16, s28
	v_rcp_f32_e32 v9, v8
	v_fma_f32 v1, -v3, v7, v1
	v_div_fmas_f32 v1, v1, v6, v7
	v_div_fixup_f32 v1, v1, v16, v0
	v_fma_f32 v3, -v8, v9, 1.0
	v_fmac_f32_e32 v9, v3, v9
	v_div_scale_f32 v3, vcc, s28, v16, s28
	v_mul_f32_e32 v6, v3, v9
	v_fma_f32 v7, -v8, v6, v3
	v_fmac_f32_e32 v6, v7, v9
	v_fma_f32 v3, -v8, v6, v3
	v_div_fmas_f32 v3, v3, v9, v6
	v_div_fixup_f32 v3, v3, v16, s28
	v_add_f32_e32 v6, 0xbefe708c, v3
	v_div_scale_f32 v7, s[4:5], v16, v16, v6
	v_rcp_f32_e32 v8, v7
	v_fmac_f32_e32 v1, v16, v5
	s_mov_b32 s4, 0xb87c50a3
	s_mov_b32 s5, 0x493b49f6
	v_fma_f32 v0, -v7, v8, 1.0
	v_fmac_f32_e32 v8, v0, v8
	v_div_scale_f32 v0, vcc, v6, v16, v6
	v_mul_f32_e32 v5, v0, v8
	v_fma_f32 v9, -v7, v5, v0
	v_fmac_f32_e32 v5, v9, v8
	v_fma_f32 v0, -v7, v5, v0
	v_div_fmas_f32 v0, v0, v8, v5
	v_div_fixup_f32 v0, v0, v16, v6
	v_mul_f32_e32 v3, 0x3e701b7a, v2
	v_pk_add_f32 v[0:1], v[0:1], s[4:5]
	v_pk_fma_f32 v[6:7], v[4:5], v[0:1], v[2:3] op_sel_hi:[0,1,1]
	v_sub_f32_e32 v0, v6, v7
	v_sub_f32_e32 v0, v0, v20
	;; [unrolled: 1-line block ×3, first 2 shown]
                                        ; implicit-def: $vgpr16
.LBB0_67:
	s_andn2_saveexec_b64 s[28:29], s[6:7]
	s_cbranch_execz .LBB0_73
; %bb.68:
	s_mov_b32 s6, 0x3f490fdb
	v_div_scale_f32 v0, s[4:5], v16, v16, s6
	v_rcp_f32_e32 v1, v0
	v_div_scale_f32 v2, vcc, s6, v16, s6
	s_mov_b32 s4, 0xf800000
	v_fma_f32 v3, -v0, v1, 1.0
	v_fmac_f32_e32 v1, v3, v1
	v_mul_f32_e32 v3, v2, v1
	v_fma_f32 v4, -v0, v3, v2
	v_fmac_f32_e32 v3, v4, v1
	v_fma_f32 v0, -v0, v3, v2
	v_div_fmas_f32 v0, v0, v1, v3
	v_div_fixup_f32 v0, v0, v16, s6
	v_mul_f32_e32 v1, 0x4f800000, v0
	v_cmp_gt_f32_e32 vcc, s4, v0
	v_cndmask_b32_e32 v0, v0, v1, vcc
	v_sqrt_f32_e32 v1, v0
	s_mov_b32 s4, 0x42540000
	v_cmp_ge_f32_e64 s[4:5], s4, v16
                                        ; implicit-def: $vgpr7
                                        ; implicit-def: $vgpr20_vgpr21
	v_add_u32_e32 v2, -1, v1
	v_fma_f32 v3, -v2, v1, v0
	v_cmp_ge_f32_e64 s[6:7], 0, v3
	v_add_u32_e32 v3, 1, v1
	v_cndmask_b32_e64 v2, v1, v2, s[6:7]
	v_fma_f32 v1, -v3, v1, v0
	v_cmp_lt_f32_e64 s[6:7], 0, v1
	v_cndmask_b32_e64 v1, v2, v3, s[6:7]
	v_mul_f32_e32 v2, 0x37800000, v1
	v_cndmask_b32_e32 v1, v1, v2, vcc
	v_mov_b32_e32 v2, 0x260
	v_cmp_class_f32_e32 vcc, v0, v2
	v_cndmask_b32_e32 v10, v1, v0, vcc
                                        ; implicit-def: $vgpr2_vgpr3
	buffer_store_dword v0, off, s[0:3], s32 offset:448 ; 4-byte Folded Spill
	s_nop 0
	buffer_store_dword v1, off, s[0:3], s32 offset:452 ; 4-byte Folded Spill
	buffer_store_dword v2, off, s[0:3], s32 offset:456 ; 4-byte Folded Spill
	;; [unrolled: 1-line block ×6, first 2 shown]
	s_and_saveexec_b64 s[6:7], s[4:5]
	s_xor_b64 s[4:5], exec, s[6:7]
                                        ; implicit-def: $vgpr0_vgpr1_vgpr2_vgpr3_vgpr4_vgpr5_vgpr6
                                        ; kill: killed $vgpr0_vgpr1_vgpr2_vgpr3_vgpr4_vgpr5_vgpr6
	s_cbranch_execz .LBB0_70
; %bb.69:
	v_mul_f32_e32 v0, 0xbfb8aa3b, v16
	s_mov_b32 s6, 0xbfb8aa3b
	v_rndne_f32_e32 v1, v0
	v_sub_f32_e32 v2, v0, v1
	v_fma_f32 v0, v16, s6, -v0
	v_fmac_f32_e32 v0, 0xb2a5705f, v16
	v_add_f32_e32 v0, v2, v0
	v_exp_f32_e32 v0, v0
	v_cvt_i32_f32_e32 v1, v1
	s_mov_b32 s6, 0x42ce8ed0
	v_cmp_nlt_f32_e32 vcc, s6, v16
	s_mov_b32 s7, 0xc2b17218
	v_ldexp_f32 v0, v0, v1
	v_cndmask_b32_e32 v0, 0, v0, vcc
	v_mov_b32_e32 v3, 0x7f800000
	v_cmp_ngt_f32_e32 vcc, s7, v16
	v_cndmask_b32_e32 v2, v3, v0, vcc
	v_cmp_eq_f32_e32 vcc, 1.0, v16
	v_frexp_mant_f32_e32 v0, v16
	s_mov_b32 s7, 0x3f2aaaab
	v_cndmask_b32_e64 v4, 4.0, 1.0, vcc
	v_cmp_gt_f32_e32 vcc, s7, v0
	v_cndmask_b32_e64 v1, 1.0, 2.0, vcc
	v_mul_f32_e32 v0, v0, v1
	v_add_f32_e32 v5, 1.0, v0
	v_rcp_f32_e32 v11, v5
	v_add_f32_e32 v1, -1.0, v5
	v_sub_f32_e32 v7, v0, v1
	v_add_f32_e32 v1, -1.0, v0
	v_mul_f32_e32 v14, v1, v11
	v_mul_f32_e32 v6, v5, v14
	v_fma_f32 v8, v14, v5, -v6
	v_fmac_f32_e32 v8, v14, v7
	v_add_f32_e32 v0, v6, v8
	v_sub_f32_e32 v7, v1, v0
	v_pk_add_f32 v[12:13], v[0:1], v[6:7] neg_lo:[0,1] neg_hi:[0,1]
	v_mov_b32_e32 v9, v0
	v_pk_add_f32 v[0:1], v[12:13], v[8:9] neg_lo:[0,1] neg_hi:[0,1]
	v_add_f32_e32 v0, v0, v1
	v_add_f32_e32 v0, v7, v0
	v_mul_f32_e32 v1, v11, v0
	v_add_f32_e32 v0, v14, v1
	v_sub_f32_e32 v5, v0, v14
	v_sub_f32_e32 v5, v1, v5
	v_mul_f32_e32 v1, v0, v0
	v_fma_f32 v7, v0, v0, -v1
	v_add_f32_e32 v6, v5, v5
	v_fmac_f32_e32 v7, v0, v6
	v_add_f32_e32 v6, v1, v7
	v_mov_b32_e32 v8, 0x3e91f4c4
	v_fmac_f32_e32 v8, 0x3e76c4e1, v6
	v_mov_b32_e32 v9, 0x3ecccdef
	v_fmac_f32_e32 v9, v6, v8
	v_sub_f32_e32 v1, v6, v1
	v_sub_f32_e32 v11, v7, v1
	v_mul_f32_e32 v1, v6, v9
	v_fma_f32 v7, v6, v9, -v1
	v_fmac_f32_e32 v7, v11, v9
	v_add_f32_e32 v8, v1, v7
	v_add_f32_e32 v9, 0x3f2aaaaa, v8
	v_sub_f32_e32 v1, v8, v1
	v_sub_f32_e32 v1, v7, v1
	v_add_f32_e32 v7, 0xbf2aaaaa, v9
	v_add_f32_e32 v1, 0x31739010, v1
	v_sub_f32_e32 v7, v8, v7
	v_pk_mul_f32 v[12:13], v[0:1], v[6:7]
	v_fma_f32 v8, v6, v0, -v12
	v_pk_add_f32 v[14:15], v[0:1], v[6:7]
	v_fmac_f32_e32 v8, v6, v5
	v_mov_b32_e32 v13, v15
	v_fmac_f32_e32 v8, v11, v0
	v_pk_add_f32 v[6:7], v[12:13], v[8:9]
	v_sub_f32_e32 v1, v6, v12
	v_sub_f32_e32 v1, v8, v1
	v_sub_f32_e32 v8, v9, v7
	v_add_f32_e32 v11, v15, v8
	v_mov_b32_e32 v8, v7
	v_pk_mul_f32 v[8:9], v[6:7], v[8:9]
	v_cvt_f64_f32_e32 v[14:15], v16
	v_frexp_exp_i32_f64_e32 v9, v[14:15]
	v_subbrev_co_u32_e32 v9, vcc, 0, v9, vcc
	v_cvt_f32_i32_e32 v9, v9
	v_fma_f32 v12, v6, v7, -v8
	v_fmac_f32_e32 v12, v6, v11
	s_mov_b32 s7, 0x3f317218
	v_mul_f32_e32 v6, 0x3f317218, v9
	v_fmac_f32_e32 v12, v1, v7
	v_fma_f32 v14, v9, s7, -v6
	v_fmac_f32_e32 v14, 0xb102e308, v9
	v_ldexp_f32 v15, v0, 1
	v_add_f32_e32 v7, v8, v12
	v_pk_add_f32 v[0:1], v[6:7], v[14:15]
	v_mov_b32_e32 v18, v7
	v_mov_b32_e32 v19, v1
	;; [unrolled: 1-line block ×3, first 2 shown]
	v_pk_add_f32 v[8:9], v[18:19], v[8:9] neg_lo:[0,1] neg_hi:[0,1]
	v_mov_b32_e32 v13, v7
	v_ldexp_f32 v5, v5, 1
	v_pk_add_f32 v[8:9], v[12:13], v[8:9] neg_lo:[0,1] neg_hi:[0,1]
	v_add_f32_e32 v5, v5, v8
	v_add_f32_e32 v7, v5, v9
	v_pk_add_f32 v[8:9], v[0:1], v[6:7] neg_lo:[0,1] neg_hi:[0,1]
	v_pk_add_f32 v[12:13], v[0:1], v[6:7]
	v_mov_b32_e32 v18, v8
	v_mov_b32_e32 v19, v13
	;; [unrolled: 1-line block ×3, first 2 shown]
	v_pk_add_f32 v[18:19], v[14:15], v[18:19]
	v_mov_b32_e32 v6, v19
	v_pk_add_f32 v[20:21], v[6:7], v[0:1] neg_lo:[0,1] neg_hi:[0,1]
	v_mov_b32_e32 v5, v20
	v_mov_b32_e32 v18, v13
	;; [unrolled: 1-line block ×4, first 2 shown]
	v_pk_add_f32 v[8:9], v[14:15], v[8:9] neg_lo:[0,1] neg_hi:[0,1]
	v_pk_add_f32 v[22:23], v[12:13], v[4:5] neg_lo:[0,1] neg_hi:[0,1]
	;; [unrolled: 1-line block ×3, first 2 shown]
	v_mov_b32_e32 v14, v7
	v_pk_add_f32 v[0:1], v[14:15], v[0:1] neg_lo:[0,1] neg_hi:[0,1]
	v_mov_b32_e32 v22, v8
	v_pk_add_f32 v[12:13], v[22:23], v[0:1]
	v_mov_b32_e32 v14, v13
	v_pk_add_f32 v[14:15], v[12:13], v[14:15]
	v_pk_add_f32 v[6:7], v[6:7], v[14:15]
	v_mov_b32_e32 v9, v19
	v_mov_b32_e32 v13, v6
	v_pk_add_f32 v[18:19], v[12:13], v[8:9] neg_lo:[0,1] neg_hi:[0,1]
	v_mov_b32_e32 v1, v14
	v_sub_f32_e32 v5, v12, v18
	v_pk_add_f32 v[0:1], v[0:1], v[18:19] neg_lo:[0,1] neg_hi:[0,1]
	v_sub_f32_e32 v5, v8, v5
	v_add_f32_e32 v0, v0, v5
	v_add_f32_e32 v0, v0, v1
	v_add_f32_e32 v1, v6, v0
	v_sub_f32_e32 v5, v1, v6
	v_sub_f32_e32 v0, v0, v5
	v_mul_f32_e32 v5, v4, v1
	v_fma_f32 v1, v4, v1, -v5
	v_fmac_f32_e32 v1, v4, v0
	s_movk_i32 s7, 0x204
	v_add_f32_e32 v0, v5, v1
	v_cmp_class_f32_e64 vcc, v5, s7
	v_sub_f32_e32 v4, v0, v5
	v_cndmask_b32_e32 v0, v0, v5, vcc
	s_mov_b32 s30, 0x42b17218
	v_sub_f32_e32 v1, v1, v4
	v_mov_b32_e32 v4, 0x37000000
	v_cmp_eq_f32_e32 vcc, s30, v0
	v_cndmask_b32_e32 v4, 0, v4, vcc
	v_sub_f32_e32 v5, v0, v4
	s_mov_b32 s31, 0x3fb8aa3b
	v_mul_f32_e32 v6, 0x3fb8aa3b, v5
	v_fma_f32 v7, v5, s31, -v6
	v_rndne_f32_e32 v8, v6
	v_fmac_f32_e32 v7, 0x32a5705f, v5
	v_sub_f32_e32 v6, v6, v8
	v_add_f32_e32 v6, v6, v7
	v_exp_f32_e32 v6, v6
	v_cvt_i32_f32_e32 v7, v8
	s_mov_b32 s6, 0x7f800000
	v_cmp_neq_f32_e64 vcc, |v0|, s6
	s_mov_b32 s6, 0xc2ce8ed0
	v_cndmask_b32_e32 v0, 0, v1, vcc
	v_ldexp_f32 v1, v6, v7
	v_cmp_ngt_f32_e32 vcc, s6, v5
	v_cndmask_b32_e32 v1, 0, v1, vcc
	v_cmp_nlt_f32_e32 vcc, s30, v5
	v_add_f32_e32 v0, v4, v0
	v_cndmask_b32_e32 v1, v3, v1, vcc
	v_fma_f32 v0, v1, v0, v1
	v_cmp_class_f32_e64 vcc, v1, s7
	s_mov_b32 s30, 0xc07b535f
	v_cndmask_b32_e32 v0, v0, v1, vcc
	s_mov_b32 s6, 0xba7d3098
	s_mov_b32 s31, 0xc1096b0d
	v_mul_f32_e64 v2, v2, |v0|
	s_mov_b32 s7, 0xbb0f9cc4
	v_pk_add_f32 v[0:1], v[16:17], s[30:31] op_sel_hi:[0,1]
	v_mov_b32_e32 v4, 0xbd383f42
	v_mov_b32_e32 v5, 0xbdf3ef08
	s_mov_b32 s30, 0x41096b0d
	v_pk_fma_f32 v[4:5], v[16:17], s[6:7], v[4:5] op_sel_hi:[0,1,1]
	v_div_scale_f32 v3, s[6:7], v1, v1, s30
	v_rcp_f32_e32 v6, v3
	s_mov_b32 s6, 0x3f1bd945
	s_mov_b32 s7, 0xbf400fa6
	;; [unrolled: 1-line block ×3, first 2 shown]
	v_fma_f32 v7, -v3, v6, 1.0
	v_fmac_f32_e32 v6, v7, v6
	v_div_scale_f32 v7, vcc, s30, v1, s30
	v_mul_f32_e32 v8, v7, v6
	v_fma_f32 v9, -v3, v8, v7
	v_fmac_f32_e32 v8, v9, v6
	v_pk_fma_f32 v[4:5], v[16:17], v[4:5], s[6:7] op_sel_hi:[0,1,1]
	v_fma_f32 v3, -v3, v8, v7
	v_div_scale_f32 v7, s[6:7], v0, v0, s31
	v_rcp_f32_e32 v9, v7
	v_div_fmas_f32 v3, v3, v6, v8
	v_div_fixup_f32 v1, v3, v1, s30
	s_mov_b32 s6, 0xb82af128
	v_fma_f32 v3, -v7, v9, 1.0
	v_fmac_f32_e32 v9, v3, v9
	v_div_scale_f32 v3, vcc, s31, v0, s31
	v_mul_f32_e32 v6, v3, v9
	v_fma_f32 v8, -v7, v6, v3
	v_fmac_f32_e32 v6, v8, v9
	v_fma_f32 v3, -v7, v6, v3
	v_div_fmas_f32 v3, v3, v9, v6
	v_div_fixup_f32 v0, v3, v0, s31
	v_pk_fma_f32 v[4:5], v[4:5], v[2:3], v[0:1] op_sel_hi:[1,0,1]
	buffer_store_dword v2, off, s[0:3], s32 offset:448 ; 4-byte Folded Spill
	s_nop 0
	buffer_store_dword v3, off, s[0:3], s32 offset:452 ; 4-byte Folded Spill
	buffer_store_dword v4, off, s[0:3], s32 offset:456 ; 4-byte Folded Spill
	;; [unrolled: 1-line block ×6, first 2 shown]
	s_mov_b32 s30, 0xbe14ca72
	s_mov_b32 s31, 0xbfab678a
	;; [unrolled: 1-line block ×3, first 2 shown]
	v_pk_add_f32 v[0:1], v[16:17], s[30:31] op_sel_hi:[0,1]
	v_mov_b32_e32 v4, 0xba3493bb
	v_mov_b32_e32 v5, 0xbc14f7f1
	s_mov_b32 s30, 0x3fab678a
	v_pk_fma_f32 v[4:5], v[16:17], s[6:7], v[4:5] op_sel_hi:[0,1,1]
	v_div_scale_f32 v3, s[6:7], v1, v1, s30
	v_rcp_f32_e32 v6, v3
	s_mov_b32 s6, 0x3c8f228e
	s_mov_b32 s7, 0x3e3cc2c7
	;; [unrolled: 1-line block ×3, first 2 shown]
	v_fma_f32 v7, -v3, v6, 1.0
	v_fmac_f32_e32 v6, v7, v6
	v_div_scale_f32 v7, vcc, s30, v1, s30
	v_mul_f32_e32 v8, v7, v6
	v_fma_f32 v9, -v3, v8, v7
	v_fmac_f32_e32 v8, v9, v6
	v_pk_fma_f32 v[4:5], v[16:17], v[4:5], s[6:7] op_sel_hi:[0,1,1]
	v_fma_f32 v3, -v3, v8, v7
	v_div_scale_f32 v7, s[6:7], v0, v0, s31
	v_rcp_f32_e32 v9, v7
	v_div_fmas_f32 v3, v3, v6, v8
	v_div_fixup_f32 v1, v3, v1, s30
	s_mov_b32 s6, 0x395a69c1
	v_fma_f32 v3, -v7, v9, 1.0
	v_fmac_f32_e32 v9, v3, v9
	v_div_scale_f32 v3, vcc, s31, v0, s31
	v_mul_f32_e32 v6, v3, v9
	v_fma_f32 v8, -v7, v6, v3
	v_fmac_f32_e32 v6, v8, v9
	v_fma_f32 v3, -v7, v6, v3
	v_div_fmas_f32 v3, v3, v9, v6
	v_div_fixup_f32 v0, v3, v0, s31
	s_mov_b32 s7, 0x36c17c4f
	s_mov_b32 s30, 0x3c9ddd0b
	;; [unrolled: 1-line block ×3, first 2 shown]
	v_pk_fma_f32 v[0:1], v[4:5], v[2:3], v[0:1] op_sel_hi:[1,0,1]
	buffer_store_dword v0, off, s[0:3], s32 offset:392 ; 4-byte Folded Spill
	s_nop 0
	buffer_store_dword v1, off, s[0:3], s32 offset:396 ; 4-byte Folded Spill
	buffer_store_dword v2, off, s[0:3], s32 offset:400 ; 4-byte Folded Spill
	;; [unrolled: 1-line block ×6, first 2 shown]
	v_mov_b32_e32 v0, 0xbb77644e
	v_mov_b32_e32 v1, 0xb8a5812b
	v_pk_fma_f32 v[0:1], v[16:17], s[6:7], v[0:1] op_sel_hi:[0,1,1]
	s_mov_b32 s6, 0x3cabea3c
	s_mov_b32 s7, 0x39ac1f68
	v_pk_fma_f32 v[0:1], v[16:17], v[0:1], s[6:7] op_sel_hi:[0,1,1]
	v_pk_mul_f32 v[0:1], v[0:1], v[2:3] op_sel_hi:[1,0]
	v_pk_fma_f32 v[20:21], v[10:11], s[30:31], v[0:1] op_sel_hi:[0,1,1]
	v_mov_b32_e32 v0, 0xbc4f9ac2
	v_fmac_f32_e32 v0, 0x3a219432, v16
	v_mov_b32_e32 v1, 0x3da6cf84
	v_fmac_f32_e32 v1, v16, v0
	v_mul_f32_e32 v7, v1, v2
	v_fmac_f32_e32 v7, 0x3e701b7a, v10
	v_sub_f32_e32 v0, v10, v7
	v_sub_f32_e32 v0, v0, v20
	;; [unrolled: 1-line block ×3, first 2 shown]
                                        ; implicit-def: $vgpr16
                                        ; implicit-def: $vgpr10
.LBB0_70:
	s_andn2_saveexec_b64 s[4:5], s[4:5]
	s_cbranch_execz .LBB0_72
; %bb.71:
	s_mov_b32 s6, 0xbe14ca72
	s_mov_b32 s7, 0xbfab678a
	v_pk_add_f32 v[0:1], v[16:17], s[6:7] op_sel_hi:[0,1]
	s_mov_b32 s30, 0x3fab678a
	v_div_scale_f32 v2, s[6:7], v1, v1, s30
	v_rcp_f32_e32 v3, v2
	s_mov_b32 s31, 0x3e14ca72
	v_fma_f32 v4, -v2, v3, 1.0
	v_fmac_f32_e32 v3, v4, v3
	v_div_scale_f32 v4, vcc, s30, v1, s30
	v_mul_f32_e32 v5, v4, v3
	v_fma_f32 v6, -v2, v5, v4
	v_fmac_f32_e32 v5, v6, v3
	v_fma_f32 v2, -v2, v5, v4
	v_div_scale_f32 v4, s[6:7], v0, v0, s31
	v_rcp_f32_e32 v6, v4
	v_div_fmas_f32 v2, v2, v3, v5
	v_div_fixup_f32 v9, v2, v1, s30
	s_mov_b32 s6, 0xc07b535f
	v_fma_f32 v1, -v4, v6, 1.0
	v_fmac_f32_e32 v6, v1, v6
	v_div_scale_f32 v1, vcc, s31, v0, s31
	v_mul_f32_e32 v5, v1, v6
	v_fma_f32 v2, -v4, v5, v1
	v_fmac_f32_e32 v5, v2, v6
	v_fma_f32 v1, -v4, v5, v1
	v_div_fmas_f32 v1, v1, v6, v5
	v_div_fixup_f32 v8, v1, v0, s31
	buffer_store_dword v8, off, s[0:3], s32 offset:392 ; 4-byte Folded Spill
	s_nop 0
	buffer_store_dword v9, off, s[0:3], s32 offset:396 ; 4-byte Folded Spill
	buffer_store_dword v10, off, s[0:3], s32 offset:400 ; 4-byte Folded Spill
	;; [unrolled: 1-line block ×6, first 2 shown]
	s_mov_b32 s7, 0xc1096b0d
	v_pk_add_f32 v[2:3], v[16:17], s[6:7] op_sel_hi:[0,1]
	s_mov_b32 s30, 0x41096b0d
	v_div_scale_f32 v4, s[6:7], v3, v3, s30
	v_rcp_f32_e32 v7, v4
	s_mov_b32 s31, 0x407b535f
	v_fma_f32 v0, -v4, v7, 1.0
	v_fmac_f32_e32 v7, v0, v7
	v_div_scale_f32 v0, vcc, s30, v3, s30
	v_mul_f32_e32 v1, v0, v7
	v_fma_f32 v5, -v4, v1, v0
	v_fmac_f32_e32 v1, v5, v7
	v_fma_f32 v0, -v4, v1, v0
	v_div_scale_f32 v4, s[6:7], v2, v2, s31
	v_rcp_f32_e32 v5, v4
	v_div_fmas_f32 v0, v0, v7, v1
	v_div_fixup_f32 v7, v0, v3, s30
	s_mov_b32 s6, 0x3c9ddd0b
	v_fma_f32 v0, -v4, v5, 1.0
	v_fmac_f32_e32 v5, v0, v5
	v_div_scale_f32 v0, vcc, s31, v2, s31
	v_mul_f32_e32 v1, v0, v5
	v_fma_f32 v3, -v4, v1, v0
	v_fmac_f32_e32 v1, v3, v5
	v_fma_f32 v0, -v4, v1, v0
	v_div_fmas_f32 v0, v0, v5, v1
	v_div_fixup_f32 v6, v0, v2, s31
	s_mov_b32 s7, 0x396c2b78
	buffer_store_dword v4, off, s[0:3], s32 offset:448 ; 4-byte Folded Spill
	s_nop 0
	buffer_store_dword v5, off, s[0:3], s32 offset:452 ; 4-byte Folded Spill
	buffer_store_dword v6, off, s[0:3], s32 offset:456 ; 4-byte Folded Spill
	;; [unrolled: 1-line block ×6, first 2 shown]
	v_pk_mul_f32 v[20:21], v[10:11], s[6:7] op_sel_hi:[0,1]
	v_mul_f32_e32 v7, 0x3e701b7a, v10
	v_fmac_f32_e32 v10, 0xbe701b7a, v10
	v_sub_f32_e32 v0, v10, v20
	v_sub_f32_e32 v6, v0, v21
.LBB0_72:
	s_or_b64 exec, exec, s[4:5]
.LBB0_73:
	s_or_b64 exec, exec, s[28:29]
.LBB0_74:
	s_or_b64 exec, exec, s[26:27]
.LBB0_75:
	s_or_b64 exec, exec, s[24:25]
.LBB0_76:
	s_or_b64 exec, exec, s[22:23]
.LBB0_77:
	s_or_b64 exec, exec, s[20:21]
.LBB0_78:
	s_or_b64 exec, exec, s[18:19]
.LBB0_79:
	s_or_b64 exec, exec, s[16:17]
	v_lshrrev_b32_e64 v0, 6, s32
	v_add_u32_e32 v0, 0xa0, v0
	v_or_b32_e32 v0, 12, v0
	s_or_b64 s[4:5], s[12:13], exec
	buffer_store_dword v7, off, s[0:3], s32 offset:164
	buffer_store_dword v6, off, s[0:3], s32 offset:160
	;; [unrolled: 1-line block ×3, first 2 shown]
.LBB0_80:
	s_or_b64 exec, exec, s[14:15]
	s_andn2_b64 s[6:7], s[12:13], exec
	s_and_b64 s[4:5], s[4:5], exec
	s_or_b64 s[12:13], s[6:7], s[4:5]
                                        ; implicit-def: $vgpr2_vgpr3_vgpr4_vgpr5_vgpr6_vgpr7_vgpr8
                                        ; kill: killed $vgpr2_vgpr3_vgpr4_vgpr5_vgpr6_vgpr7_vgpr8
.LBB0_81:
	s_or_b64 exec, exec, s[10:11]
	s_and_b64 s[6:7], s[12:13], exec
                                        ; implicit-def: $vgpr16
	s_andn2_saveexec_b64 s[8:9], s[8:9]
	s_cbranch_execnz .LBB0_328
.LBB0_82:
	s_or_b64 exec, exec, s[8:9]
	s_and_saveexec_b64 s[4:5], s[6:7]
	s_cbranch_execz .LBB0_84
.LBB0_83:
	buffer_store_dword v21, v0, s[0:3], 0 offen
.LBB0_84:
	s_or_b64 exec, exec, s[4:5]
	v_cmp_lt_i32_e32 vcc, -2, v24
	v_mov_b32_e32 v8, 0
	s_and_saveexec_b64 s[6:7], vcc
	s_cbranch_execz .LBB0_467
; %bb.85:
	v_mul_f32_e32 v0, v40, v41
	v_div_scale_f32 v1, s[4:5], v50, v50, v0
	v_rcp_f32_e32 v2, v1
	v_div_scale_f32 v3, vcc, v0, v50, v0
	s_mov_b32 s4, 0xf800000
	v_fma_f32 v4, -v1, v2, 1.0
	v_fmac_f32_e32 v2, v4, v2
	v_mul_f32_e32 v4, v3, v2
	v_fma_f32 v5, -v1, v4, v3
	v_fmac_f32_e32 v4, v5, v2
	v_fma_f32 v1, -v1, v4, v3
	v_mul_f32_e32 v3, 0x4f800000, v25
	v_cmp_gt_f32_e64 s[4:5], s4, v25
	v_cndmask_b32_e64 v3, v25, v3, s[4:5]
	v_sqrt_f32_e32 v5, v3
	v_div_fmas_f32 v1, v1, v2, v4
	v_div_fixup_f32 v1, v1, v50, v0
	v_accvgpr_read_b32 v11, a11
	v_add_u32_e32 v0, -1, v5
	v_fma_f32 v2, -v0, v5, v3
	v_cmp_ge_f32_e32 vcc, 0, v2
	v_add_u32_e32 v2, 1, v5
	v_fma_f32 v4, -v2, v5, v3
	v_cndmask_b32_e32 v0, v5, v0, vcc
	v_cmp_lt_f32_e32 vcc, 0, v4
	v_cndmask_b32_e32 v0, v0, v2, vcc
	v_mul_f32_e32 v2, 0x37800000, v0
	v_cndmask_b32_e64 v0, v0, v2, s[4:5]
	v_div_scale_f32 v2, s[4:5], v49, v49, 0.5
	v_rcp_f32_e32 v4, v2
	v_mov_b32_e32 v5, 0x260
	v_cmp_class_f32_e32 vcc, v3, v5
	v_cndmask_b32_e32 v0, v0, v3, vcc
	v_fma_f32 v3, -v2, v4, 1.0
	v_fmac_f32_e32 v4, v3, v4
	v_div_scale_f32 v3, vcc, 0.5, v49, 0.5
	v_mul_f32_e32 v5, v3, v4
	v_fma_f32 v6, -v2, v5, v3
	v_fmac_f32_e32 v5, v6, v4
	v_fma_f32 v2, -v2, v5, v3
	v_div_scale_f32 v3, s[4:5], v50, v50, 0.5
	v_rcp_f32_e32 v6, v3
	v_div_fmas_f32 v2, v2, v4, v5
	v_div_fixup_f32 v2, v2, v49, 0.5
	v_accvgpr_write_b32 a17, v2
	v_fma_f32 v2, -v3, v6, 1.0
	v_fmac_f32_e32 v6, v2, v6
	v_div_scale_f32 v2, vcc, 0.5, v50, 0.5
	v_mul_f32_e32 v4, v2, v6
	v_fma_f32 v5, -v3, v4, v2
	v_fmac_f32_e32 v4, v5, v6
	v_fma_f32 v2, -v3, v4, v2
	v_div_fmas_f32 v2, v2, v6, v4
	v_div_fixup_f32 v2, v2, v50, 0.5
	v_accvgpr_write_b32 a18, v2
	v_accvgpr_read_b32 v2, a0
	v_add_u32_e32 v7, v11, v2
	v_mul_f32_e64 v2, -v59, v51
	v_div_scale_f32 v3, s[4:5], v49, v49, v2
	v_rcp_f32_e32 v4, v3
	v_sub_f32_e32 v5, v52, v44
	v_mul_f32_e32 v13, v50, v5
	v_sub_f32_e32 v12, v28, v35
	v_fma_f32 v5, -v3, v4, 1.0
	v_fmac_f32_e32 v4, v5, v4
	v_div_scale_f32 v5, vcc, v2, v49, v2
	v_mul_f32_e32 v6, v5, v4
	v_fma_f32 v8, -v3, v6, v5
	v_fmac_f32_e32 v6, v8, v4
	v_fma_f32 v3, -v3, v6, v5
	v_div_fmas_f32 v3, v3, v4, v6
	v_sub_f32_e32 v10, v44, v57
	v_div_fixup_f32 v2, v3, v49, v2
	v_mul_f32_e32 v4, v12, v1
	v_mul_f32_e32 v3, v10, v2
	;; [unrolled: 1-line block ×3, first 2 shown]
	v_fma_f32 v3, v10, v3, -v4
	s_mov_b32 s55, 0x3fb8aa3b
	v_mul_f32_e32 v4, 0x3fb8aa3b, v3
	v_fma_f32 v5, v3, s55, -v4
	v_rndne_f32_e32 v6, v4
	v_fmac_f32_e32 v5, 0x32a5705f, v3
	v_sub_f32_e32 v4, v4, v6
	v_add_f32_e32 v4, v4, v5
	v_exp_f32_e32 v4, v4
	v_cvt_i32_f32_e32 v5, v6
	s_mov_b32 s4, 0xc2ce8ed0
	v_cmp_ngt_f32_e32 vcc, s4, v3
	s_mov_b32 s5, 0x42b17218
	v_ldexp_f32 v4, v4, v5
	v_cndmask_b32_e32 v4, 0, v4, vcc
	v_mov_b32_e32 v17, 0x7f800000
	v_cmp_nlt_f32_e32 vcc, s5, v3
                                        ; implicit-def: $vgpr61 : SGPR spill to VGPR lane
	v_cndmask_b32_e32 v3, v17, v4, vcc
	v_writelane_b32 v61, s6, 0
	v_mul_f32_e32 v3, 0x40490fdb, v3
	v_writelane_b32 v61, s7, 1
	v_div_scale_f32 v4, s[6:7], v0, v0, v3
	v_rcp_f32_e32 v5, v4
	v_sub_f32_e32 v6, v52, v28
	v_accvgpr_write_b32 a23, v6
	v_mul_f32_e32 v8, v50, v6
	v_sub_f32_e32 v6, v43, v28
	v_fmac_f32_e32 v8, v49, v6
	v_fma_f32 v6, -v4, v5, 1.0
	v_fmac_f32_e32 v5, v6, v5
	v_div_scale_f32 v6, vcc, v3, v0, v3
	v_sub_f32_e32 v9, v43, v44
	v_accvgpr_write_b32 a24, v8
	v_mul_f32_e32 v8, v6, v5
	v_accvgpr_write_b32 a21, v9
	v_fmac_f32_e32 v13, v49, v9
	v_fma_f32 v9, -v4, v8, v6
	v_fmac_f32_e32 v8, v9, v5
	v_fma_f32 v4, -v4, v8, v6
	v_accvgpr_write_b32 a20, v12
	v_cmp_eq_f32_e64 s[22:23], 1.0, v12
	v_sub_f32_e32 v12, v58, v29
	v_div_fmas_f32 v4, v4, v5, v8
	v_sub_f32_e32 v52, v45, v33
	v_mul_f32_e32 v5, v12, v1
	v_div_fixup_f32 v19, v4, v0, v3
	v_mul_f32_e32 v4, v52, v2
	v_mul_f32_e32 v5, v12, v5
	v_fma_f32 v4, v52, v4, -v5
	v_mul_f32_e32 v5, 0x3fb8aa3b, v4
	s_waitcnt vmcnt(8)
	v_add_u32_e32 v18, v54, v56
	v_fma_f32 v6, v4, s55, -v5
	v_rndne_f32_e32 v8, v5
	v_cmp_lt_i32_e64 s[10:11], 1, v18
	v_fmac_f32_e32 v6, 0x32a5705f, v4
	v_sub_f32_e32 v5, v5, v8
	v_writelane_b32 v61, s10, 2
	v_add_f32_e32 v5, v5, v6
	v_accvgpr_write_b32 a22, v13
	v_cmp_lt_i32_e64 s[8:9], 0, v18
	v_writelane_b32 v61, s11, 3
	v_accvgpr_read_b32 v3, a1
	v_accvgpr_read_b32 v13, a12
	v_exp_f32_e32 v5, v5
	v_cvt_i32_f32_e32 v6, v8
	v_writelane_b32 v61, s8, 4
	v_add_u32_e32 v51, v13, v3
	v_sub_f32_e32 v3, v42, v45
	v_cmp_lt_i32_e64 s[12:13], 0, v7
	v_writelane_b32 v61, s9, 5
	v_sub_f32_e32 v9, v31, v45
	v_mul_f32_e32 v3, v50, v3
	v_writelane_b32 v61, s12, 6
	v_fmac_f32_e32 v3, v49, v9
	v_writelane_b32 v61, s13, 7
	s_and_b64 s[8:9], s[8:9], s[12:13]
	v_accvgpr_write_b32 a29, v3
	v_ldexp_f32 v3, v5, v6
	v_cmp_ngt_f32_e32 vcc, s4, v4
	v_writelane_b32 v61, s8, 8
	v_cndmask_b32_e32 v3, 0, v3, vcc
	v_cmp_nlt_f32_e32 vcc, s5, v4
	v_writelane_b32 v61, s9, 9
	v_cmp_lt_i32_e64 s[8:9], -1, v11
	v_cndmask_b32_e32 v3, v17, v3, vcc
	v_writelane_b32 v61, s8, 10
	v_mul_f32_e32 v3, 0x40490fdb, v3
	v_writelane_b32 v61, s9, 11
	v_div_scale_f32 v4, s[8:9], v0, v0, v3
	v_rcp_f32_e32 v5, v4
	v_sub_f32_e32 v8, v42, v58
	v_accvgpr_write_b32 a30, v8
	v_mul_f32_e32 v8, v50, v8
	v_sub_f32_e32 v6, v31, v58
	v_fmac_f32_e32 v8, v49, v6
	v_fma_f32 v6, -v4, v5, 1.0
	v_fmac_f32_e32 v5, v6, v5
	v_div_scale_f32 v6, vcc, v3, v0, v3
	v_accvgpr_write_b32 a31, v8
	v_mul_f32_e32 v8, v6, v5
	v_accvgpr_write_b32 a28, v9
	v_fma_f32 v9, -v4, v8, v6
	v_fmac_f32_e32 v8, v9, v5
	v_fma_f32 v4, -v4, v8, v6
	v_div_fmas_f32 v4, v4, v5, v8
	v_sub_f32_e32 v8, v48, v27
	v_sub_f32_e32 v58, v47, v32
	v_mul_f32_e32 v1, v8, v1
	v_mul_f32_e32 v2, v58, v2
	;; [unrolled: 1-line block ×3, first 2 shown]
	v_fma_f32 v1, v58, v2, -v1
	v_mul_f32_e32 v2, 0x3fb8aa3b, v1
	v_add_u32_e32 v37, v60, v53
	v_div_fixup_f32 v3, v4, v0, v3
	v_fma_f32 v4, v1, s55, -v2
	v_rndne_f32_e32 v5, v2
	v_cmp_lt_i32_e64 s[24:25], 1, v37
	v_fmac_f32_e32 v4, 0x32a5705f, v1
	v_sub_f32_e32 v2, v2, v5
	v_writelane_b32 v61, s24, 12
	v_add_f32_e32 v2, v2, v4
	v_cmp_lt_i32_e64 s[8:9], 0, v37
	v_writelane_b32 v61, s25, 13
	v_exp_f32_e32 v2, v2
	v_cvt_i32_f32_e32 v4, v5
	v_writelane_b32 v61, s8, 14
	v_cmp_lt_i32_e64 s[12:13], 0, v51
	v_writelane_b32 v61, s9, 15
	v_writelane_b32 v61, s12, 16
	v_writelane_b32 v61, s13, 17
	s_and_b64 s[8:9], s[8:9], s[12:13]
	v_ldexp_f32 v2, v2, v4
	v_cmp_ngt_f32_e32 vcc, s4, v1
	v_accvgpr_write_b32 a32, v3
	v_writelane_b32 v61, s8, 18
	v_accvgpr_read_b32 v3, a10
	v_accvgpr_read_b32 v9, a13
	v_cndmask_b32_e32 v2, 0, v2, vcc
	v_cmp_nlt_f32_e32 vcc, s5, v1
	v_writelane_b32 v61, s9, 19
	v_cmp_lt_i32_e64 s[8:9], -1, v13
	v_add_u32_e32 v57, v9, v3
	v_sub_f32_e32 v3, v55, v47
	v_cndmask_b32_e32 v1, v17, v2, vcc
	v_writelane_b32 v61, s8, 20
	v_sub_f32_e32 v6, v30, v47
	v_mul_f32_e32 v3, v50, v3
	v_mul_f32_e32 v1, 0x40490fdb, v1
	v_writelane_b32 v61, s9, 21
	v_fmac_f32_e32 v3, v49, v6
	v_div_scale_f32 v2, s[8:9], v0, v0, v1
	v_accvgpr_write_b32 a36, v3
	v_rcp_f32_e32 v3, v2
	v_sub_f32_e32 v5, v55, v48
	v_accvgpr_write_b32 a37, v5
	v_mul_f32_e32 v5, v50, v5
	v_sub_f32_e32 v4, v30, v48
	v_fmac_f32_e32 v5, v49, v4
	v_fma_f32 v4, -v2, v3, 1.0
	v_fmac_f32_e32 v3, v4, v3
	v_div_scale_f32 v4, vcc, v1, v0, v1
	v_accvgpr_write_b32 a38, v5
	v_mul_f32_e32 v5, v4, v3
	v_accvgpr_write_b32 a35, v6
	v_fma_f32 v6, -v2, v5, v4
	v_fmac_f32_e32 v5, v6, v3
	v_fma_f32 v2, -v2, v5, v4
	v_add_u32_e32 v20, v34, v46
	v_div_fmas_f32 v2, v2, v3, v5
	v_div_fixup_f32 v0, v2, v0, v1
	v_cmp_lt_i32_e64 s[24:25], 1, v20
	v_add_u32_e32 v1, -1, v11
	v_writelane_b32 v61, s24, 22
	v_and_b32_e32 v6, -2, v1
	v_lshrrev_b32_e64 v4, 6, s32
	v_accvgpr_write_b32 a39, v0
	v_cmp_lt_i32_e64 s[8:9], 0, v20
	v_writelane_b32 v61, s25, 23
	v_add_u32_e32 v0, -1, v54
	v_accvgpr_write_b32 a42, v1
	v_cmp_ne_u32_e64 s[72:73], v1, v6
	v_mov_b32_e32 v1, 0
	v_add_u32_e32 v4, 0xc0, v4
	v_writelane_b32 v61, s8, 24
	v_and_b32_e32 v5, -2, v0
	buffer_store_dword v1, off, s[0:3], s32 offset:388 ; 4-byte Folded Spill
	v_or_b32_e32 v1, 4, v4
	v_cmp_lt_i32_e64 s[12:13], 0, v57
	v_writelane_b32 v61, s9, 25
	v_add_u32_e32 v3, -1, v13
	v_accvgpr_write_b32 a49, v1
	v_add_u32_e32 v1, 2, v5
	v_writelane_b32 v61, s12, 26
	v_add_u32_e32 v21, -1, v34
	v_and_b32_e32 v14, -2, v3
	v_accvgpr_write_b32 a50, v1
	v_add_u32_e32 v1, 2, v6
	v_writelane_b32 v61, s13, 27
	s_and_b64 s[8:9], s[8:9], s[12:13]
	v_add_u32_e32 v2, -1, v9
	v_and_b32_e32 v15, -2, v21
	v_accvgpr_write_b32 a51, v1
	v_add_u32_e32 v1, 2, v14
	v_writelane_b32 v61, s8, 28
	v_and_b32_e32 v16, -2, v2
	v_accvgpr_write_b32 a52, v1
	v_add_u32_e32 v1, 2, v15
	v_writelane_b32 v61, s9, 29
	v_cmp_lt_i32_e64 s[8:9], -1, v9
	v_add_u32_e32 v59, -1, v60
	v_accvgpr_write_b32 a53, v1
	v_add_u32_e32 v1, 2, v16
	v_writelane_b32 v61, s8, 30
	v_accvgpr_write_b32 a34, v8
	v_cmp_eq_f32_e64 s[64:65], 1.0, v8
	v_and_b32_e32 v8, -2, v59
	v_accvgpr_write_b32 a54, v1
	v_or_b32_e32 v1, 8, v4
	v_accvgpr_write_b32 a14, v26
	s_mov_b32 s54, 0
	s_mov_b32 s6, 0x7f800000
	v_cmp_lt_i32_e64 s[10:11], 1, v7
	v_cmp_lt_i32_e64 s[14:15], -1, v54
	v_cmp_lt_i32_e64 s[16:17], 1, v54
	v_cmp_eq_f32_e64 s[18:19], 1.0, v10
	v_cmp_lt_u32_e64 s[20:21], 1, v11
	v_cmp_lt_i32_e64 s[30:31], 1, v51
	v_cmp_lt_i32_e64 s[36:37], -1, v60
	v_cmp_lt_i32_e64 s[38:39], 1, v60
	v_cmp_eq_f32_e64 s[40:41], 1.0, v52
	v_cmp_lt_u32_e64 s[42:43], 1, v13
	v_accvgpr_write_b32 a27, v12
	v_cmp_eq_f32_e64 s[44:45], 1.0, v12
	v_cmp_lt_i32_e64 s[52:53], 1, v57
	v_writelane_b32 v61, s9, 31
	v_cmp_lt_i32_e64 s[56:57], -1, v34
	v_cmp_lt_i32_e64 s[58:59], 1, v34
	v_cmp_eq_f32_e64 s[60:61], 1.0, v58
	v_cmp_lt_u32_e64 s[62:63], 1, v9
	v_cmp_ne_u32_e64 s[66:67], 2, v54
	v_cmp_ne_u32_e64 s[68:69], v0, v5
	;; [unrolled: 1-line block ×3, first 2 shown]
	s_mov_b32 s7, 0x3f2aaaab
	s_mov_b32 s24, 0x3f317218
	s_movk_i32 s25, 0x204
	s_brev_b32 s26, -2
	v_cmp_ne_u32_e64 s[74:75], 2, v60
	v_cmp_ne_u32_e64 s[76:77], v59, v8
	;; [unrolled: 1-line block ×3, first 2 shown]
	v_accvgpr_write_b32 a43, v5
	v_accvgpr_write_b32 a44, v6
	;; [unrolled: 1-line block ×3, first 2 shown]
	v_add_u32_e32 v12, 2, v8
	v_accvgpr_write_b32 a41, v3
	v_cmp_ne_u32_e64 s[80:81], v3, v14
	v_cmp_ne_u32_e64 s[82:83], 2, v34
	;; [unrolled: 1-line block ×4, first 2 shown]
	v_accvgpr_write_b32 a40, v2
	v_cmp_ne_u32_e64 s[88:89], v2, v16
	s_mov_b64 s[98:99], 0
	v_accvgpr_write_b32 a46, v14
	v_accvgpr_write_b32 a47, v15
	;; [unrolled: 1-line block ×4, first 2 shown]
	v_add_u32_e32 v5, 1, v54
	v_add_u32_e32 v11, 1, v11
	;; [unrolled: 1-line block ×6, first 2 shown]
	v_mov_b32_e32 v42, 0x3ecccdef
	v_mov_b32_e32 v47, 0x37000000
	;; [unrolled: 1-line block ×3, first 2 shown]
	v_accvgpr_write_b32 a26, v37
	s_branch .LBB0_88
.LBB0_86:                               ;   in Loop: Header=BB0_88 Depth=1
	s_or_b64 exec, exec, s[28:29]
.LBB0_87:                               ;   in Loop: Header=BB0_88 Depth=1
	s_or_b64 exec, exec, s[12:13]
	v_lshrrev_b32_e64 v2, 6, s32
	s_lshl_b32 s8, s54, 2
	v_add_u32_e32 v2, 0xa0, v2
	v_add_u32_e32 v2, s8, v2
	buffer_load_dword v2, v2, s[0:3], 0 offen
	s_nop 0
	buffer_load_dword v3, off, s[0:3], s32 offset:388 ; 4-byte Folded Reload
	v_mul_f32_e32 v1, v20, v37
	v_mul_f32_e32 v1, v1, v35
	s_add_i32 s8, s54, 1
	v_accvgpr_read_b32 v18, a19
	v_accvgpr_read_b32 v19, a25
	;; [unrolled: 1-line block ×4, first 2 shown]
	s_waitcnt vmcnt(0)
	v_fmac_f32_e32 v3, v1, v2
	v_accvgpr_read_b32 v1, a16
	v_cmp_eq_u32_e32 vcc, s54, v1
	s_or_b64 s[98:99], vcc, s[98:99]
	s_mov_b32 s54, s8
	buffer_store_dword v3, off, s[0:3], s32 offset:388 ; 4-byte Folded Spill
	s_andn2_b64 exec, exec, s[98:99]
	s_cbranch_execz .LBB0_466
.LBB0_88:                               ; =>This Loop Header: Depth=1
                                        ;     Child Loop BB0_94 Depth 2
                                        ;     Child Loop BB0_97 Depth 2
                                        ;     Child Loop BB0_101 Depth 2
                                        ;       Child Loop BB0_103 Depth 3
                                        ;     Child Loop BB0_108 Depth 2
                                        ;       Child Loop BB0_113 Depth 3
                                        ;         Child Loop BB0_116 Depth 4
                                        ;         Child Loop BB0_120 Depth 4
                                        ;         Child Loop BB0_126 Depth 4
                                        ;         Child Loop BB0_130 Depth 4
                                        ;         Child Loop BB0_134 Depth 4
                                        ;         Child Loop BB0_138 Depth 4
                                        ;       Child Loop BB0_142 Depth 3
                                        ;       Child Loop BB0_146 Depth 3
                                        ;       Child Loop BB0_153 Depth 3
                                        ;       Child Loop BB0_157 Depth 3
                                        ;       Child Loop BB0_161 Depth 3
                                        ;       Child Loop BB0_165 Depth 3
                                        ;     Child Loop BB0_174 Depth 2
                                        ;     Child Loop BB0_177 Depth 2
                                        ;     Child Loop BB0_181 Depth 2
                                        ;       Child Loop BB0_183 Depth 3
                                        ;     Child Loop BB0_188 Depth 2
                                        ;       Child Loop BB0_193 Depth 3
                                        ;         Child Loop BB0_196 Depth 4
                                        ;         Child Loop BB0_200 Depth 4
                                        ;         Child Loop BB0_206 Depth 4
                                        ;         Child Loop BB0_210 Depth 4
                                        ;         Child Loop BB0_214 Depth 4
                                        ;         Child Loop BB0_218 Depth 4
                                        ;       Child Loop BB0_222 Depth 3
                                        ;       Child Loop BB0_226 Depth 3
                                        ;       Child Loop BB0_233 Depth 3
                                        ;       Child Loop BB0_237 Depth 3
                                        ;       Child Loop BB0_241 Depth 3
                                        ;       Child Loop BB0_245 Depth 3
	;; [unrolled: 18-line block ×3, first 2 shown]
	buffer_load_dword v22, off, s[0:3], s32 offset:392 ; 4-byte Folded Reload
	buffer_load_dword v23, off, s[0:3], s32 offset:396 ; 4-byte Folded Reload
	;; [unrolled: 1-line block ×7, first 2 shown]
	s_cmp_eq_u32 s54, 1
	s_cselect_b64 vcc, -1, 0
	s_cmp_eq_u32 s54, 2
	s_waitcnt vmcnt(5)
	v_cndmask_b32_e32 v1, v22, v23, vcc
	buffer_load_dword v22, off, s[0:3], s32 offset:448 ; 4-byte Folded Reload
	buffer_load_dword v23, off, s[0:3], s32 offset:452 ; 4-byte Folded Reload
	;; [unrolled: 1-line block ×7, first 2 shown]
	s_cselect_b64 vcc, -1, 0
	s_cmp_eq_u32 s54, 3
	s_waitcnt vmcnt(3)
	v_pk_mov_b32 v[2:3], v[24:25], v[24:25] op_sel:[0,1]
	buffer_load_dword v22, off, s[0:3], s32 offset:420 ; 4-byte Folded Reload
	buffer_load_dword v23, off, s[0:3], s32 offset:424 ; 4-byte Folded Reload
	;; [unrolled: 1-line block ×7, first 2 shown]
	v_cndmask_b32_e32 v1, v1, v2, vcc
	s_cselect_b64 vcc, -1, 0
	s_cmp_eq_u32 s54, 4
	v_cndmask_b32_e32 v1, v1, v3, vcc
	s_cselect_b64 vcc, -1, 0
	s_cmp_eq_u32 s54, 5
	buffer_store_dword v19, off, s[0:3], s32 offset:192
	s_waitcnt vmcnt(3)
	v_cndmask_b32_e32 v1, v1, v26, vcc
	s_cselect_b64 vcc, -1, 0
	s_cmp_eq_u32 s54, 6
	v_cndmask_b32_e32 v1, v1, v5, vcc
	s_cselect_b64 vcc, -1, 0
	v_cndmask_b32_e32 v1, v1, v6, vcc
	v_add_f32_e32 v2, 1.0, v1
	v_div_scale_f32 v3, s[8:9], v2, v2, 1.0
	v_rcp_f32_e32 v9, v3
	v_mul_f32_e32 v1, 0.5, v1
	v_fma_f32 v13, -v3, v9, 1.0
	v_fmac_f32_e32 v9, v13, v9
	v_div_scale_f32 v13, vcc, 1.0, v2, 1.0
	v_mul_f32_e32 v14, v13, v9
	v_fma_f32 v15, -v3, v14, v13
	v_fmac_f32_e32 v14, v15, v9
	v_fma_f32 v3, -v3, v14, v13
	v_div_fmas_f32 v3, v3, v9, v14
	v_accvgpr_read_b32 v15, a15
	v_div_fixup_f32 v35, v3, v2, 1.0
	v_div_scale_f32 v2, s[8:9], v15, v15, v1
	v_rcp_f32_e32 v3, v2
	v_fma_f32 v9, -v2, v3, 1.0
	v_fmac_f32_e32 v3, v9, v3
	v_div_scale_f32 v9, vcc, v1, v15, v1
	v_mul_f32_e32 v13, v9, v3
	v_fma_f32 v14, -v2, v13, v9
	v_fmac_f32_e32 v13, v14, v3
	v_fma_f32 v2, -v2, v13, v9
	v_div_fmas_f32 v2, v2, v3, v13
	v_div_fixup_f32 v1, v2, v15, v1
	v_mul_f32_e32 v43, v1, v35
	v_accvgpr_read_b32 v1, a21
	v_mul_f32_e32 v1, v1, v35
	v_cvt_f64_f32_e32 v[2:3], v1
	v_accvgpr_read_b32 v1, a22
	v_mul_f32_e32 v1, v1, v43
	v_cvt_f64_f32_e32 v[14:15], v1
	v_fmac_f64_e32 v[2:3], 2.0, v[14:15]
	v_cvt_f32_f64_e32 v1, v[2:3]
	s_mov_b64 s[8:9], exec
	v_readlane_b32 s12, v61, 4
	v_readlane_b32 s13, v61, 5
	s_and_b64 s[12:13], s[8:9], s[12:13]
	s_mov_b64 exec, s[12:13]
	s_cbranch_execz .LBB0_90
; %bb.89:                               ;   in Loop: Header=BB0_88 Depth=1
	v_mul_f32_e32 v2, v19, v1
	buffer_store_dword v2, off, s[0:3], s32 offset:220
.LBB0_90:                               ;   in Loop: Header=BB0_88 Depth=1
	s_or_b64 exec, exec, s[8:9]
	v_accvgpr_read_b32 v2, a23
	v_accvgpr_read_b32 v9, a24
	v_mul_f32_e32 v2, v2, v35
	v_mul_f32_e32 v9, v9, v43
	v_cvt_f64_f32_e32 v[2:3], v2
	v_cvt_f64_f32_e32 v[14:15], v9
	v_fmac_f64_e32 v[2:3], 2.0, v[14:15]
	v_cvt_f32_f64_e32 v2, v[2:3]
	s_mov_b64 s[8:9], exec
	v_readlane_b32 s12, v61, 6
	v_readlane_b32 s13, v61, 7
	s_and_b64 s[12:13], s[8:9], s[12:13]
	s_mov_b64 exec, s[12:13]
	s_cbranch_execz .LBB0_92
; %bb.91:                               ;   in Loop: Header=BB0_88 Depth=1
	v_mul_f32_e32 v3, v19, v2
	buffer_store_dword v3, off, s[0:3], s32 offset:196
.LBB0_92:                               ;   in Loop: Header=BB0_88 Depth=1
	s_or_b64 exec, exec, s[8:9]
	v_accvgpr_read_b32 v3, a17
	v_fma_f32 v36, v3, v35, v43
	s_mov_b64 s[12:13], exec
	v_readlane_b32 s8, v61, 2
	v_readlane_b32 s9, v61, 3
	s_and_b64 s[8:9], s[12:13], s[8:9]
	s_mov_b64 exec, s[8:9]
	s_cbranch_execz .LBB0_95
; %bb.93:                               ;   in Loop: Header=BB0_88 Depth=1
	buffer_load_dword v9, off, s[0:3], s32 offset:220
	v_lshrrev_b32_e64 v3, 6, s32
	v_add_u32_e32 v3, 0xc0, v3
	s_mov_b32 s8, 1
	s_mov_b64 s[28:29], 0
.LBB0_94:                               ;   Parent Loop BB0_88 Depth=1
                                        ; =>  This Inner Loop Header: Depth=2
	buffer_load_dword v13, v3, s[0:3], 0 offen
	v_cvt_f32_i32_e32 v14, s8
	s_add_i32 s8, s8, 1
	v_cmp_eq_u32_e32 vcc, s8, v18
	s_or_b64 s[28:29], vcc, s[28:29]
	v_mul_f32_e32 v14, v36, v14
	s_waitcnt vmcnt(0)
	v_mul_f32_e32 v13, v13, v14
	v_fmac_f32_e32 v13, v9, v1
	buffer_store_dword v13, v3, s[0:3], 0 offen offset:56
	v_add_u32_e32 v3, 28, v3
	v_mov_b32_e32 v9, v13
	s_andn2_b64 exec, exec, s[28:29]
	s_cbranch_execnz .LBB0_94
.LBB0_95:                               ;   in Loop: Header=BB0_88 Depth=1
	s_or_b64 exec, exec, s[12:13]
	v_accvgpr_read_b32 v1, a18
	v_fma_f32 v48, v1, v35, v43
	s_and_saveexec_b64 s[12:13], s[10:11]
	s_cbranch_execz .LBB0_98
; %bb.96:                               ;   in Loop: Header=BB0_88 Depth=1
	buffer_load_dword v9, off, s[0:3], s32 offset:196
	s_mov_b32 s8, 1
	s_mov_b64 s[28:29], 0
	v_accvgpr_read_b32 v1, a55
	v_mov_b32_e32 v3, v19
	s_waitcnt vmcnt(0)
.LBB0_97:                               ;   Parent Loop BB0_88 Depth=1
                                        ; =>  This Inner Loop Header: Depth=2
	v_mov_b32_e32 v13, v9
	v_cvt_f32_i32_e32 v9, s8
	s_add_i32 s8, s8, 1
	v_cmp_eq_u32_e32 vcc, s8, v7
	s_or_b64 s[28:29], vcc, s[28:29]
	v_mul_f32_e32 v9, v48, v9
	v_mul_f32_e32 v9, v3, v9
	v_fmac_f32_e32 v9, v13, v2
	v_mov_b32_e32 v3, v13
	buffer_store_dword v9, v1, s[0:3], 0 offen
	v_add_u32_e32 v1, 4, v1
	s_andn2_b64 exec, exec, s[28:29]
	s_cbranch_execnz .LBB0_97
.LBB0_98:                               ;   in Loop: Header=BB0_88 Depth=1
	s_or_b64 exec, exec, s[12:13]
	s_mov_b64 s[12:13], exec
	v_readlane_b32 s8, v61, 8
	v_readlane_b32 s9, v61, 9
	s_and_b64 s[8:9], s[12:13], s[8:9]
	s_mov_b64 exec, s[8:9]
	s_cbranch_execz .LBB0_104
; %bb.99:                               ;   in Loop: Header=BB0_88 Depth=1
	s_mov_b32 s8, 1
	s_mov_b64 s[28:29], 0
	v_accvgpr_read_b32 v1, a49
	s_branch .LBB0_101
.LBB0_100:                              ;   in Loop: Header=BB0_101 Depth=2
	s_or_b64 exec, exec, s[34:35]
	s_add_i32 s9, s8, 1
	v_cmp_eq_u32_e32 vcc, s8, v18
	v_add_u32_e32 v1, 28, v1
	s_or_b64 s[28:29], vcc, s[28:29]
	s_mov_b32 s8, s9
	s_andn2_b64 exec, exec, s[28:29]
	s_cbranch_execz .LBB0_104
.LBB0_101:                              ;   Parent Loop BB0_88 Depth=1
                                        ; =>  This Loop Header: Depth=2
                                        ;       Child Loop BB0_103 Depth 3
	s_mul_i32 s9, s8, 28
	v_add_u32_e32 v13, s9, v4
	v_subrev_u32_e32 v3, 28, v13
	buffer_load_dword v14, v13, s[0:3], 0 offen
	buffer_load_dword v15, v3, s[0:3], 0 offen
	v_cvt_f32_u32_e32 v3, s8
	v_mul_f32_e32 v3, v43, v3
	s_waitcnt vmcnt(1)
	v_mul_f32_e32 v9, v14, v2
	s_waitcnt vmcnt(0)
	v_fmac_f32_e32 v9, v15, v3
	buffer_store_dword v9, v13, s[0:3], 0 offen offset:4
	s_and_saveexec_b64 s[34:35], s[10:11]
	s_cbranch_execz .LBB0_100
; %bb.102:                              ;   in Loop: Header=BB0_101 Depth=2
	s_mov_b32 s9, 1
	s_mov_b64 s[90:91], 0
	v_mov_b32_e32 v13, v1
.LBB0_103:                              ;   Parent Loop BB0_88 Depth=1
                                        ;     Parent Loop BB0_101 Depth=2
                                        ; =>    This Inner Loop Header: Depth=3
	v_mov_b32_e32 v15, v9
	v_cvt_f32_i32_e32 v9, s9
	s_add_i32 s9, s9, 1
	v_cmp_eq_u32_e32 vcc, s9, v7
	s_or_b64 s[90:91], vcc, s[90:91]
	v_mul_f32_e32 v9, v48, v9
	v_mul_f32_e32 v9, v14, v9
	buffer_load_dword v14, v13, s[0:3], 0 offen
	s_waitcnt vmcnt(0)
	v_fmac_f32_e32 v9, v3, v14
	v_fmac_f32_e32 v9, v15, v2
	buffer_store_dword v9, v13, s[0:3], 0 offen offset:32
	v_add_u32_e32 v13, 4, v13
	v_mov_b32_e32 v14, v15
	s_andn2_b64 exec, exec, s[90:91]
	s_cbranch_execnz .LBB0_103
	s_branch .LBB0_100
.LBB0_104:                              ;   in Loop: Header=BB0_88 Depth=1
	s_or_b64 exec, exec, s[12:13]
	v_accvgpr_write_b32 a33, v20
	v_accvgpr_write_b32 a25, v19
	;; [unrolled: 1-line block ×3, first 2 shown]
	v_mov_b32_e32 v20, 0
	s_mov_b64 s[12:13], exec
	v_readlane_b32 s8, v61, 10
	v_readlane_b32 s9, v61, 11
	s_and_b64 s[8:9], s[12:13], s[8:9]
	s_mov_b64 exec, s[8:9]
	s_cbranch_execz .LBB0_168
; %bb.105:                              ;   in Loop: Header=BB0_88 Depth=1
	s_mov_b32 s46, 0
	s_mov_b32 s27, -1
	s_mov_b64 s[28:29], 0
	v_mov_b32_e32 v20, 0
	v_mov_b32_e32 v37, v11
	v_accvgpr_read_b32 v9, a42
	s_branch .LBB0_108
.LBB0_106:                              ;   in Loop: Header=BB0_108 Depth=2
	s_or_b64 exec, exec, s[50:51]
.LBB0_107:                              ;   in Loop: Header=BB0_108 Depth=2
	s_or_b64 exec, exec, s[34:35]
	v_mul_lo_u32 v2, v2, s47
	v_sub_u32_e32 v3, 0, v2
	v_max_i32_e32 v3, v2, v3
	v_cvt_f32_u32_e32 v15, v3
	v_sub_u32_e32 v18, 0, v14
	v_xor_b32_e32 v2, v14, v2
	v_max_i32_e32 v14, v14, v18
	v_rcp_iflag_f32_e32 v15, v15
	v_sub_u32_e32 v18, 0, v3
	v_ashrrev_i32_e32 v2, 31, v2
	s_waitcnt vmcnt(2)
	v_accvgpr_read_b32 v27, a20
	v_mul_f32_e32 v15, 0x4f7ffffe, v15
	v_cvt_u32_f32_e32 v15, v15
	s_add_i32 s27, s27, 1
	v_add_u32_e32 v9, -1, v9
	v_add_u32_e32 v37, -1, v37
	v_mul_lo_u32 v18, v18, v15
	v_mul_hi_u32 v18, v15, v18
	v_add_u32_e32 v15, v15, v18
	v_mul_hi_u32 v15, v14, v15
	v_mul_lo_u32 v18, v15, v3
	v_sub_u32_e32 v14, v14, v18
	v_cmp_ge_u32_e32 vcc, v14, v3
	v_sub_u32_e32 v18, v14, v3
	v_add_u32_e32 v19, 1, v15
	v_cndmask_b32_e32 v14, v14, v18, vcc
	v_cndmask_b32_e32 v15, v15, v19, vcc
	v_cmp_ge_u32_e32 vcc, v14, v3
	v_cvt_f32_i32_e32 v14, v1
	v_add_u32_e32 v18, 1, v15
	v_cndmask_b32_e32 v3, v15, v18, vcc
	v_xor_b32_e32 v1, v3, v2
	v_cndmask_b32_e64 v14, v14, 1.0, s[22:23]
	v_cmp_eq_f32_e32 vcc, 0, v14
	v_cndmask_b32_e64 v15, |v27|, 1.0, vcc
	v_sub_u32_e32 v1, v1, v2
	v_frexp_mant_f32_e32 v2, v15
	v_cmp_gt_f32_e64 s[90:91], s7, v2
	v_cndmask_b32_e64 v3, 1.0, 2.0, s[90:91]
	v_mul_f32_e32 v2, v2, v3
	v_add_f32_e32 v18, 1.0, v2
	v_rcp_f32_e32 v19, v18
	v_add_f32_e32 v3, -1.0, v18
	v_sub_f32_e32 v23, v2, v3
	v_add_f32_e32 v3, -1.0, v2
	v_mul_f32_e32 v26, v3, v19
	v_mul_f32_e32 v22, v18, v26
	v_fma_f32 v24, v26, v18, -v22
	v_fmac_f32_e32 v24, v26, v23
	v_add_f32_e32 v2, v22, v24
	v_sub_f32_e32 v23, v3, v2
	v_pk_add_f32 v[38:39], v[2:3], v[22:23] neg_lo:[0,1] neg_hi:[0,1]
	v_mov_b32_e32 v25, v2
	v_pk_add_f32 v[2:3], v[38:39], v[24:25] neg_lo:[0,1] neg_hi:[0,1]
	v_add_f32_e32 v2, v2, v3
	v_add_f32_e32 v2, v23, v2
	v_mul_f32_e32 v3, v19, v2
	v_add_f32_e32 v2, v26, v3
	v_sub_f32_e32 v18, v2, v26
	v_sub_f32_e32 v18, v3, v18
	v_mul_f32_e32 v3, v2, v2
	v_fma_f32 v19, v2, v2, -v3
	v_add_f32_e32 v22, v18, v18
	v_fmac_f32_e32 v19, v2, v22
	v_add_f32_e32 v22, v3, v19
	v_mov_b32_e32 v23, 0x3e91f4c4
	v_fmac_f32_e32 v23, 0x3e76c4e1, v22
	v_fma_f32 v23, v22, v23, v42
	v_sub_f32_e32 v3, v22, v3
	v_sub_f32_e32 v19, v19, v3
	v_mul_f32_e32 v3, v22, v23
	v_fma_f32 v24, v22, v23, -v3
	v_fmac_f32_e32 v24, v19, v23
	v_add_f32_e32 v23, v3, v24
	v_add_f32_e32 v25, 0x3f2aaaaa, v23
	v_sub_f32_e32 v3, v23, v3
	v_sub_f32_e32 v3, v24, v3
	v_add_f32_e32 v24, 0xbf2aaaaa, v25
	v_add_f32_e32 v3, 0x31739010, v3
	v_sub_f32_e32 v23, v23, v24
	v_pk_mul_f32 v[38:39], v[2:3], v[22:23]
	v_fma_f32 v24, v22, v2, -v38
	v_pk_add_f32 v[44:45], v[2:3], v[22:23]
	v_fmac_f32_e32 v24, v22, v18
	v_mov_b32_e32 v39, v45
	v_fmac_f32_e32 v24, v19, v2
	v_pk_add_f32 v[22:23], v[38:39], v[24:25]
	v_sub_f32_e32 v3, v22, v38
	v_sub_f32_e32 v3, v24, v3
	v_mov_b32_e32 v24, v23
	v_sub_f32_e32 v19, v25, v23
	v_pk_mul_f32 v[24:25], v[22:23], v[24:25]
	v_cvt_f64_f32_e32 v[38:39], v15
	v_frexp_exp_i32_f64_e32 v25, v[38:39]
	v_subbrev_co_u32_e64 v25, s[90:91], 0, v25, s[90:91]
	v_cvt_f32_i32_e32 v25, v25
	v_add_f32_e32 v19, v45, v19
	v_fma_f32 v38, v22, v23, -v24
	v_fmac_f32_e32 v38, v22, v19
	v_mul_f32_e32 v22, 0x3f317218, v25
	v_fmac_f32_e32 v38, v3, v23
	v_fma_f32 v44, v25, s24, -v22
	v_fmac_f32_e32 v44, 0xb102e308, v25
	v_ldexp_f32 v45, v2, 1
	v_add_f32_e32 v23, v24, v38
	s_waitcnt vmcnt(1)
	v_pk_add_f32 v[28:29], v[22:23], v[44:45]
	v_mov_b32_e32 v2, v23
	v_mov_b32_e32 v3, v29
	;; [unrolled: 1-line block ×3, first 2 shown]
	v_pk_add_f32 v[2:3], v[2:3], v[24:25] neg_lo:[0,1] neg_hi:[0,1]
	v_mov_b32_e32 v39, v23
	v_ldexp_f32 v18, v18, 1
	v_pk_add_f32 v[2:3], v[38:39], v[2:3] neg_lo:[0,1] neg_hi:[0,1]
	v_add_f32_e32 v2, v18, v2
	v_add_f32_e32 v23, v2, v3
	v_pk_add_f32 v[2:3], v[28:29], v[22:23] neg_lo:[0,1] neg_hi:[0,1]
	v_pk_add_f32 v[24:25], v[28:29], v[22:23]
	v_mov_b32_e32 v38, v2
	v_mov_b32_e32 v39, v25
	;; [unrolled: 1-line block ×3, first 2 shown]
	v_pk_add_f32 v[38:39], v[44:45], v[38:39]
	v_mov_b32_e32 v22, v39
	v_pk_add_f32 v[40:41], v[22:23], v[28:29] neg_lo:[0,1] neg_hi:[0,1]
	v_mov_b32_e32 v19, v40
	v_pk_add_f32 v[18:19], v[24:25], v[18:19] neg_lo:[0,1] neg_hi:[0,1]
	v_mov_b32_e32 v38, v25
	v_mov_b32_e32 v24, v29
	;; [unrolled: 1-line block ×3, first 2 shown]
	v_pk_add_f32 v[2:3], v[44:45], v[2:3] neg_lo:[0,1] neg_hi:[0,1]
	v_pk_add_f32 v[24:25], v[38:39], v[24:25] neg_lo:[0,1] neg_hi:[0,1]
	v_mov_b32_e32 v44, v23
	v_pk_add_f32 v[24:25], v[44:45], v[24:25] neg_lo:[0,1] neg_hi:[0,1]
	v_mov_b32_e32 v18, v2
	v_pk_add_f32 v[18:19], v[18:19], v[24:25]
	v_mov_b32_e32 v28, v19
	v_pk_add_f32 v[28:29], v[18:19], v[28:29]
	v_pk_add_f32 v[22:23], v[22:23], v[28:29]
	v_mov_b32_e32 v3, v39
	v_mov_b32_e32 v19, v22
	v_pk_add_f32 v[38:39], v[18:19], v[2:3] neg_lo:[0,1] neg_hi:[0,1]
	v_mov_b32_e32 v25, v28
	v_sub_f32_e32 v3, v18, v38
	v_pk_add_f32 v[24:25], v[24:25], v[38:39] neg_lo:[0,1] neg_hi:[0,1]
	v_sub_f32_e32 v2, v2, v3
	v_add_f32_e32 v2, v24, v2
	v_add_f32_e32 v2, v2, v25
	;; [unrolled: 1-line block ×3, first 2 shown]
	v_sub_f32_e32 v18, v3, v22
	v_sub_f32_e32 v2, v2, v18
	v_mul_f32_e32 v18, v14, v3
	v_fma_f32 v3, v14, v3, -v18
	v_fmac_f32_e32 v3, v14, v2
	v_add_f32_e32 v2, v18, v3
	v_cmp_class_f32_e64 s[90:91], v18, s25
	v_sub_f32_e32 v19, v2, v18
	v_cndmask_b32_e64 v2, v2, v18, s[90:91]
	v_cmp_eq_f32_e64 s[90:91], s5, v2
	v_cndmask_b32_e64 v18, 0, v47, s[90:91]
	v_sub_f32_e32 v3, v3, v19
	v_sub_f32_e32 v19, v2, v18
	v_mul_f32_e32 v22, 0x3fb8aa3b, v19
	v_fma_f32 v23, v19, s55, -v22
	v_rndne_f32_e32 v24, v22
	v_fmac_f32_e32 v23, 0x32a5705f, v19
	v_sub_f32_e32 v22, v22, v24
	v_add_f32_e32 v22, v22, v23
	v_exp_f32_e32 v22, v22
	v_cvt_i32_f32_e32 v23, v24
	v_cmp_neq_f32_e64 s[90:91], |v2|, s6
	v_cndmask_b32_e64 v2, 0, v3, s[90:91]
	v_cmp_ngt_f32_e64 s[90:91], s4, v19
	v_ldexp_f32 v3, v22, v23
	v_cndmask_b32_e64 v3, 0, v3, s[90:91]
	v_cmp_nlt_f32_e64 s[90:91], s5, v19
	v_add_f32_e32 v2, v18, v2
	v_cndmask_b32_e64 v3, v17, v3, s[90:91]
	v_fma_f32 v2, v3, v2, v3
	v_cmp_class_f32_e64 s[90:91], v3, s25
	v_trunc_f32_e32 v18, v14
	v_cndmask_b32_e64 v2, v2, v3, s[90:91]
	v_cndmask_b32_e64 v3, v27, 1.0, vcc
	v_cmp_eq_f32_e32 vcc, v18, v14
	v_mul_f32_e32 v18, 0.5, v14
	v_trunc_f32_e32 v19, v18
	v_cmp_neq_f32_e64 s[90:91], v19, v18
	s_and_b64 s[90:91], vcc, s[90:91]
	v_cndmask_b32_e64 v18, 1.0, v3, s[90:91]
	v_bfi_b32 v2, s26, v2, v18
	v_cmp_eq_f32_e64 s[92:93], 0, v3
	v_cmp_gt_f32_e64 s[94:95], 0, v14
	v_cndmask_b32_e32 v18, v50, v2, vcc
	v_cmp_gt_f32_e32 vcc, 0, v3
	s_xor_b64 s[8:9], s[94:95], s[92:93]
	v_cvt_f32_i32_e32 v1, v1
	v_cndmask_b32_e32 v2, v2, v18, vcc
	v_cmp_eq_f32_e32 vcc, s6, v15
	v_cndmask_b32_e64 v14, v17, 0, s[8:9]
	v_cndmask_b32_e64 v15, 0, v3, s[90:91]
	v_bfi_b32 v14, s26, v14, v15
	s_or_b64 vcc, vcc, s[92:93]
	v_cndmask_b32_e32 v2, v2, v14, vcc
	v_cmp_o_f32_e32 vcc, v3, v3
	v_cndmask_b32_e32 v2, v50, v2, vcc
	v_mul_f32_e32 v1, v2, v1
	v_fmac_f32_e32 v20, v13, v1
	v_accvgpr_read_b32 v1, a11
	s_add_i32 s8, s46, 1
	v_cmp_eq_u32_e32 vcc, s46, v1
	s_or_b64 s[28:29], vcc, s[28:29]
	s_mov_b32 s46, s8
	s_andn2_b64 exec, exec, s[28:29]
	s_cbranch_execz .LBB0_167
.LBB0_108:                              ;   Parent Loop BB0_88 Depth=1
                                        ; =>  This Loop Header: Depth=2
                                        ;       Child Loop BB0_113 Depth 3
                                        ;         Child Loop BB0_116 Depth 4
                                        ;         Child Loop BB0_120 Depth 4
	;; [unrolled: 1-line block ×6, first 2 shown]
                                        ;       Child Loop BB0_142 Depth 3
                                        ;       Child Loop BB0_146 Depth 3
	;; [unrolled: 1-line block ×6, first 2 shown]
	v_mov_b32_e32 v13, 0
	s_and_saveexec_b64 s[96:97], s[14:15]
	s_cbranch_execz .LBB0_139
; %bb.109:                              ;   in Loop: Header=BB0_108 Depth=2
	v_accvgpr_read_b32 v1, a0
	v_add_u32_e32 v1, s46, v1
	s_mov_b32 s48, 0
	s_mov_b32 s47, -1
	s_mov_b64 s[34:35], 0
	v_mov_b32_e32 v13, 0
	v_lshlrev_b32_e32 v15, 2, v1
	v_mov_b32_e32 v41, v5
	v_mov_b32_e32 v14, v0
	s_branch .LBB0_113
.LBB0_110:                              ;   in Loop: Header=BB0_113 Depth=3
	s_or_b64 exec, exec, s[8:9]
.LBB0_111:                              ;   in Loop: Header=BB0_113 Depth=3
	s_or_b64 exec, exec, s[50:51]
.LBB0_112:                              ;   in Loop: Header=BB0_113 Depth=3
	s_or_b64 exec, exec, s[90:91]
	v_mul_lo_u32 v2, v2, s49
	v_sub_u32_e32 v19, 0, v2
	v_xor_b32_e32 v3, v22, v2
	v_max_i32_e32 v2, v2, v19
	v_cvt_f32_u32_e32 v19, v2
	v_sub_u32_e32 v18, 0, v22
	v_max_i32_e32 v18, v22, v18
	v_sub_u32_e32 v22, 0, v2
	v_rcp_iflag_f32_e32 v19, v19
	v_cvt_f32_i32_e32 v1, v1
	v_ashrrev_i32_e32 v3, 31, v3
	s_add_i32 s47, s47, 1
	v_mul_f32_e32 v19, 0x4f7ffffe, v19
	v_cvt_u32_f32_e32 v19, v19
	v_cndmask_b32_e64 v39, v1, 1.0, s[18:19]
	v_cmp_gt_f32_e64 s[94:95], 0, v39
	v_add_u32_e32 v14, -1, v14
	v_mul_lo_u32 v22, v22, v19
	v_mul_hi_u32 v22, v19, v22
	v_add_u32_e32 v19, v19, v22
	v_mul_hi_u32 v19, v18, v19
	v_mul_lo_u32 v22, v19, v2
	v_sub_u32_e32 v18, v18, v22
	v_cmp_ge_u32_e32 vcc, v18, v2
	v_add_u32_e32 v22, 1, v19
	v_cndmask_b32_e32 v19, v19, v22, vcc
	v_sub_u32_e32 v22, v18, v2
	v_cndmask_b32_e32 v18, v18, v22, vcc
	v_cmp_ge_u32_e32 vcc, v18, v2
	v_add_u32_e32 v2, 1, v19
	v_cndmask_b32_e32 v2, v19, v2, vcc
	v_xor_b32_e32 v2, v2, v3
	v_cmp_eq_f32_e32 vcc, 0, v39
	v_sub_u32_e32 v2, v2, v3
	v_cndmask_b32_e64 v1, |v10|, 1.0, vcc
	v_cvt_f32_i32_e32 v22, v2
	v_frexp_mant_f32_e32 v2, v1
	v_cmp_gt_f32_e64 s[90:91], s7, v2
	v_cndmask_b32_e64 v3, 1.0, 2.0, s[90:91]
	v_mul_f32_e32 v2, v2, v3
	v_add_f32_e32 v19, 1.0, v2
	v_rcp_f32_e32 v26, v19
	v_add_f32_e32 v3, -1.0, v19
	v_sub_f32_e32 v23, v2, v3
	v_add_f32_e32 v3, -1.0, v2
	s_waitcnt vmcnt(2)
	v_mul_f32_e32 v27, v3, v26
	v_mul_f32_e32 v18, v19, v27
	v_fma_f32 v24, v27, v19, -v18
	v_fmac_f32_e32 v24, v27, v23
	v_add_f32_e32 v2, v18, v24
	v_sub_f32_e32 v19, v3, v2
	s_waitcnt vmcnt(1)
	v_pk_add_f32 v[28:29], v[2:3], v[18:19] neg_lo:[0,1] neg_hi:[0,1]
	v_mov_b32_e32 v25, v2
	v_pk_add_f32 v[2:3], v[28:29], v[24:25] neg_lo:[0,1] neg_hi:[0,1]
	v_add_f32_e32 v2, v2, v3
	v_add_f32_e32 v2, v19, v2
	v_mul_f32_e32 v3, v26, v2
	v_add_f32_e32 v2, v27, v3
	v_sub_f32_e32 v18, v2, v27
	v_sub_f32_e32 v23, v3, v18
	v_mul_f32_e32 v3, v2, v2
	v_fma_f32 v19, v2, v2, -v3
	v_add_f32_e32 v18, v23, v23
	v_fmac_f32_e32 v19, v2, v18
	v_add_f32_e32 v18, v3, v19
	v_mov_b32_e32 v24, 0x3e91f4c4
	v_fmac_f32_e32 v24, 0x3e76c4e1, v18
	v_fma_f32 v24, v18, v24, v42
	v_sub_f32_e32 v3, v18, v3
	v_sub_f32_e32 v26, v19, v3
	v_mul_f32_e32 v3, v18, v24
	v_fma_f32 v19, v18, v24, -v3
	v_fmac_f32_e32 v19, v26, v24
	v_add_f32_e32 v24, v3, v19
	v_add_f32_e32 v25, 0x3f2aaaaa, v24
	v_sub_f32_e32 v3, v24, v3
	v_sub_f32_e32 v3, v19, v3
	v_add_f32_e32 v19, 0xbf2aaaaa, v25
	v_add_f32_e32 v3, 0x31739010, v3
	v_sub_f32_e32 v19, v24, v19
	v_pk_mul_f32 v[28:29], v[2:3], v[18:19]
	v_fma_f32 v24, v18, v2, -v28
	v_pk_add_f32 v[44:45], v[2:3], v[18:19]
	v_fmac_f32_e32 v24, v18, v23
	v_mov_b32_e32 v29, v45
	v_fmac_f32_e32 v24, v26, v2
	v_pk_add_f32 v[18:19], v[28:29], v[24:25]
	v_sub_f32_e32 v3, v18, v28
	v_sub_f32_e32 v3, v24, v3
	;; [unrolled: 1-line block ×3, first 2 shown]
	v_add_f32_e32 v26, v45, v24
	v_mov_b32_e32 v24, v19
	v_pk_mul_f32 v[24:25], v[18:19], v[24:25]
	v_fma_f32 v28, v18, v19, -v24
	v_fmac_f32_e32 v28, v18, v26
	v_fmac_f32_e32 v28, v3, v19
	v_cvt_f64_f32_e32 v[18:19], v1
	v_frexp_exp_i32_f64_e32 v3, v[18:19]
	v_subbrev_co_u32_e64 v3, s[90:91], 0, v3, s[90:91]
	v_cvt_f32_i32_e32 v3, v3
	v_ldexp_f32 v45, v2, 1
	v_add_f32_e32 v19, v24, v28
	v_mov_b32_e32 v2, v19
	v_mul_f32_e32 v18, 0x3f317218, v3
	v_fma_f32 v44, v3, s24, -v18
	v_fmac_f32_e32 v44, 0xb102e308, v3
	v_pk_add_f32 v[30:31], v[18:19], v[44:45]
	v_mov_b32_e32 v3, v31
	v_mov_b32_e32 v25, v45
	v_pk_add_f32 v[2:3], v[2:3], v[24:25] neg_lo:[0,1] neg_hi:[0,1]
	v_mov_b32_e32 v29, v19
	v_ldexp_f32 v23, v23, 1
	v_pk_add_f32 v[2:3], v[28:29], v[2:3] neg_lo:[0,1] neg_hi:[0,1]
	v_add_f32_e32 v2, v23, v2
	v_add_f32_e32 v19, v2, v3
	v_pk_add_f32 v[2:3], v[30:31], v[18:19] neg_lo:[0,1] neg_hi:[0,1]
	v_pk_add_f32 v[24:25], v[30:31], v[18:19]
	v_mov_b32_e32 v28, v2
	v_mov_b32_e32 v29, v25
	;; [unrolled: 1-line block ×3, first 2 shown]
	v_pk_add_f32 v[28:29], v[44:45], v[28:29]
	v_mov_b32_e32 v18, v29
	v_pk_add_f32 v[26:27], v[18:19], v[30:31] neg_lo:[0,1] neg_hi:[0,1]
	v_mov_b32_e32 v23, v26
	v_pk_add_f32 v[32:33], v[24:25], v[22:23] neg_lo:[0,1] neg_hi:[0,1]
	v_mov_b32_e32 v28, v25
	v_mov_b32_e32 v24, v31
	v_mov_b32_e32 v25, v26
	v_pk_add_f32 v[2:3], v[44:45], v[2:3] neg_lo:[0,1] neg_hi:[0,1]
	v_pk_add_f32 v[24:25], v[28:29], v[24:25] neg_lo:[0,1] neg_hi:[0,1]
	v_mov_b32_e32 v44, v19
	v_pk_add_f32 v[24:25], v[44:45], v[24:25] neg_lo:[0,1] neg_hi:[0,1]
	v_mov_b32_e32 v32, v2
	v_pk_add_f32 v[26:27], v[32:33], v[24:25]
	v_mov_b32_e32 v28, v27
	v_mov_b32_e32 v3, v29
	v_pk_add_f32 v[28:29], v[26:27], v[28:29]
	v_pk_add_f32 v[18:19], v[18:19], v[28:29]
	v_mov_b32_e32 v27, v18
	v_pk_add_f32 v[30:31], v[26:27], v[2:3] neg_lo:[0,1] neg_hi:[0,1]
	v_mov_b32_e32 v25, v28
	v_sub_f32_e32 v3, v26, v30
	v_pk_add_f32 v[24:25], v[24:25], v[30:31] neg_lo:[0,1] neg_hi:[0,1]
	v_sub_f32_e32 v2, v2, v3
	v_add_f32_e32 v2, v24, v2
	v_add_f32_e32 v2, v2, v25
	;; [unrolled: 1-line block ×3, first 2 shown]
	v_sub_f32_e32 v18, v3, v18
	v_sub_f32_e32 v2, v2, v18
	v_mul_f32_e32 v18, v39, v3
	v_fma_f32 v3, v39, v3, -v18
	v_fmac_f32_e32 v3, v39, v2
	v_add_f32_e32 v2, v18, v3
	v_cmp_class_f32_e64 s[90:91], v18, s25
	v_sub_f32_e32 v19, v2, v18
	v_cndmask_b32_e64 v2, v2, v18, s[90:91]
	v_sub_f32_e32 v3, v3, v19
	v_cmp_neq_f32_e64 s[90:91], |v2|, s6
	v_cndmask_b32_e64 v3, 0, v3, s[90:91]
	v_cmp_eq_f32_e64 s[90:91], s5, v2
	v_cndmask_b32_e64 v18, 0, v47, s[90:91]
	v_sub_f32_e32 v2, v2, v18
	v_add_f32_e32 v3, v18, v3
	v_mul_f32_e32 v18, 0x3fb8aa3b, v2
	v_fma_f32 v19, v2, s55, -v18
	v_rndne_f32_e32 v23, v18
	v_fmac_f32_e32 v19, 0x32a5705f, v2
	v_sub_f32_e32 v18, v18, v23
	v_add_f32_e32 v18, v18, v19
	v_exp_f32_e32 v18, v18
	v_cvt_i32_f32_e32 v19, v23
	v_cmp_ngt_f32_e64 s[90:91], s4, v2
	v_add_u32_e32 v41, -1, v41
	v_ldexp_f32 v18, v18, v19
	v_cndmask_b32_e64 v18, 0, v18, s[90:91]
	v_cmp_nlt_f32_e64 s[90:91], s5, v2
	v_cndmask_b32_e64 v2, v17, v18, s[90:91]
	v_fma_f32 v3, v2, v3, v2
	v_cmp_class_f32_e64 s[90:91], v2, s25
	v_trunc_f32_e32 v18, v39
	v_cndmask_b32_e64 v2, v3, v2, s[90:91]
	v_cndmask_b32_e64 v3, v10, 1.0, vcc
	v_cmp_eq_f32_e32 vcc, v18, v39
	v_mul_f32_e32 v18, 0.5, v39
	v_trunc_f32_e32 v19, v18
	v_cmp_neq_f32_e64 s[90:91], v19, v18
	s_and_b64 s[90:91], vcc, s[90:91]
	v_cndmask_b32_e64 v18, 1.0, v3, s[90:91]
	v_bfi_b32 v2, s26, v2, v18
	v_cmp_gt_f32_e64 s[92:93], 0, v3
	v_cndmask_b32_e32 v18, v50, v2, vcc
	v_cndmask_b32_e64 v2, v2, v18, s[92:93]
	v_cmp_eq_f32_e64 s[92:93], 0, v3
	s_xor_b64 s[8:9], s[94:95], s[92:93]
	v_cmp_eq_f32_e32 vcc, s6, v1
	v_cndmask_b32_e64 v1, v17, 0, s[8:9]
	v_cndmask_b32_e64 v18, 0, v3, s[90:91]
	s_or_b64 vcc, vcc, s[92:93]
	v_bfi_b32 v1, s26, v1, v18
	v_cndmask_b32_e32 v1, v2, v1, vcc
	v_cmp_o_f32_e32 vcc, v3, v3
	v_cndmask_b32_e32 v1, v50, v1, vcc
	v_mul_f32_e32 v2, v1, v22
	v_add_u32_e32 v1, s48, v56
	v_mul_lo_u32 v1, v1, 28
	v_add3_u32 v1, v4, v1, v15
	buffer_load_dword v3, v1, s[0:3], 0 offen
	s_add_i32 s8, s48, 1
	v_cmp_eq_u32_e32 vcc, s48, v54
	s_or_b64 s[34:35], vcc, s[34:35]
	s_mov_b32 s48, s8
	s_waitcnt vmcnt(0)
	v_fmac_f32_e32 v13, v3, v2
	s_andn2_b64 exec, exec, s[34:35]
	s_cbranch_execz .LBB0_149
.LBB0_113:                              ;   Parent Loop BB0_88 Depth=1
                                        ;     Parent Loop BB0_108 Depth=2
                                        ; =>    This Loop Header: Depth=3
                                        ;         Child Loop BB0_116 Depth 4
                                        ;         Child Loop BB0_120 Depth 4
                                        ;         Child Loop BB0_126 Depth 4
                                        ;         Child Loop BB0_130 Depth 4
                                        ;         Child Loop BB0_134 Depth 4
                                        ;         Child Loop BB0_138 Depth 4
	v_mov_b32_e32 v22, 1
	s_and_saveexec_b64 s[90:91], s[16:17]
	s_cbranch_execz .LBB0_123
; %bb.114:                              ;   in Loop: Header=BB0_113 Depth=3
	s_mov_b64 vcc, -1
	v_mov_b32_e32 v22, 1
	v_mov_b32_e32 v1, 2
	s_and_saveexec_b64 s[92:93], s[66:67]
	s_cbranch_execz .LBB0_118
; %bb.115:                              ;   in Loop: Header=BB0_113 Depth=3
	s_mov_b32 s94, 1
	s_mov_b32 s8, 3
	;; [unrolled: 1-line block ×3, first 2 shown]
	s_mov_b64 s[50:51], 0
	v_accvgpr_read_b32 v1, a43
	s_mov_b32 s95, s94
.LBB0_116:                              ;   Parent Loop BB0_88 Depth=1
                                        ;     Parent Loop BB0_108 Depth=2
                                        ;       Parent Loop BB0_113 Depth=3
                                        ; =>      This Inner Loop Header: Depth=4
	v_add_u32_e32 v1, -2, v1
	s_mul_i32 s95, s95, s8
	s_mul_i32 s94, s94, s9
	s_add_i32 s9, s9, 2
	s_add_i32 s8, s8, 2
	v_cmp_eq_u32_e32 vcc, 0, v1
	s_or_b64 s[50:51], vcc, s[50:51]
	v_pk_mov_b32 v[2:3], s[94:95], s[94:95] op_sel:[0,1]
	s_andn2_b64 exec, exec, s[50:51]
	s_cbranch_execnz .LBB0_116
; %bb.117:                              ;   in Loop: Header=BB0_113 Depth=3
	s_or_b64 exec, exec, s[50:51]
	v_mul_lo_u32 v22, v2, v3
	s_orn2_b64 vcc, s[68:69], exec
	v_accvgpr_read_b32 v1, a50
.LBB0_118:                              ;   in Loop: Header=BB0_113 Depth=3
	s_or_b64 exec, exec, s[92:93]
	s_and_saveexec_b64 s[50:51], vcc
	s_cbranch_execz .LBB0_122
; %bb.119:                              ;   in Loop: Header=BB0_113 Depth=3
	s_mov_b64 s[8:9], 0
.LBB0_120:                              ;   Parent Loop BB0_88 Depth=1
                                        ;     Parent Loop BB0_108 Depth=2
                                        ;       Parent Loop BB0_113 Depth=3
                                        ; =>      This Inner Loop Header: Depth=4
	v_mul_lo_u32 v22, v22, v1
	v_add_u32_e32 v1, 1, v1
	v_cmp_eq_u32_e32 vcc, v5, v1
	s_or_b64 s[8:9], vcc, s[8:9]
	s_andn2_b64 exec, exec, s[8:9]
	s_cbranch_execnz .LBB0_120
; %bb.121:                              ;   in Loop: Header=BB0_113 Depth=3
	s_or_b64 exec, exec, s[8:9]
.LBB0_122:                              ;   in Loop: Header=BB0_113 Depth=3
	s_or_b64 exec, exec, s[50:51]
.LBB0_123:                              ;   in Loop: Header=BB0_113 Depth=3
	s_or_b64 exec, exec, s[90:91]
	s_cmp_lt_u32 s48, 2
	s_mov_b32 s49, 1
	s_cbranch_scc1 .LBB0_131
; %bb.124:                              ;   in Loop: Header=BB0_113 Depth=3
	s_cmp_eq_u32 s48, 2
	s_mov_b32 s50, 2
	s_cbranch_scc1 .LBB0_128
; %bb.125:                              ;   in Loop: Header=BB0_113 Depth=3
	s_and_b32 s9, s47, -2
	s_mov_b32 s8, 1
	s_mov_b32 vcc_lo, 3
	s_mov_b32 vcc_hi, 2
.LBB0_126:                              ;   Parent Loop BB0_88 Depth=1
                                        ;     Parent Loop BB0_108 Depth=2
                                        ;       Parent Loop BB0_113 Depth=3
                                        ; =>      This Inner Loop Header: Depth=4
	s_mul_i32 s49, s49, vcc_lo
	s_mul_i32 s8, s8, vcc_hi
	s_add_i32 vcc_hi, vcc_hi, 2
	s_add_i32 vcc_lo, vcc_lo, 2
	s_add_i32 s9, s9, -2
	s_cmp_lg_u32 s9, 0
	s_cbranch_scc1 .LBB0_126
; %bb.127:                              ;   in Loop: Header=BB0_113 Depth=3
	s_add_i32 s9, s48, -1
	s_and_b32 vcc_lo, s9, -2
	s_add_i32 s50, vcc_lo, 2
	s_cmp_lg_u32 s9, vcc_lo
	s_mul_i32 s49, s8, s49
	s_cselect_b64 s[8:9], -1, 0
	s_and_b64 vcc, exec, s[8:9]
	s_cbranch_vccnz .LBB0_129
	s_branch .LBB0_131
.LBB0_128:                              ;   in Loop: Header=BB0_113 Depth=3
	s_cbranch_execz .LBB0_131
.LBB0_129:                              ;   in Loop: Header=BB0_113 Depth=3
	s_add_i32 s8, s48, 1
.LBB0_130:                              ;   Parent Loop BB0_88 Depth=1
                                        ;     Parent Loop BB0_108 Depth=2
                                        ;       Parent Loop BB0_113 Depth=3
                                        ; =>      This Inner Loop Header: Depth=4
	s_mul_i32 s49, s49, s50
	s_add_i32 s50, s50, 1
	s_cmp_lg_u32 s8, s50
	s_cbranch_scc1 .LBB0_130
.LBB0_131:                              ;   in Loop: Header=BB0_113 Depth=3
	v_subrev_u32_e32 v1, s48, v54
	v_cmp_lt_i32_e32 vcc, 1, v1
	v_mov_b32_e32 v2, 1
	s_and_saveexec_b64 s[90:91], vcc
	s_cbranch_execz .LBB0_112
; %bb.132:                              ;   in Loop: Header=BB0_113 Depth=3
	v_subrev_u32_e32 v39, s48, v0
	s_mov_b32 s94, 1
	v_cmp_lt_u32_e32 vcc, 1, v39
	s_mov_b64 s[8:9], -1
	v_mov_b32_e32 v2, 1
	v_mov_b32_e32 v49, 2
	s_and_saveexec_b64 s[92:93], vcc
	s_cbranch_execz .LBB0_136
; %bb.133:                              ;   in Loop: Header=BB0_113 Depth=3
	v_and_b32_e32 v19, -2, v14
	s_mov_b32 s8, 3
	s_mov_b32 s9, 2
	s_mov_b64 s[50:51], 0
	s_mov_b32 s95, s94
.LBB0_134:                              ;   Parent Loop BB0_88 Depth=1
                                        ;     Parent Loop BB0_108 Depth=2
                                        ;       Parent Loop BB0_113 Depth=3
                                        ; =>      This Inner Loop Header: Depth=4
	v_add_u32_e32 v19, -2, v19
	s_mul_i32 s95, s95, s8
	s_mul_i32 s94, s94, s9
	s_add_i32 s9, s9, 2
	s_add_i32 s8, s8, 2
	v_cmp_eq_u32_e32 vcc, 0, v19
	s_or_b64 s[50:51], vcc, s[50:51]
	v_pk_mov_b32 v[2:3], s[94:95], s[94:95] op_sel:[0,1]
	s_andn2_b64 exec, exec, s[50:51]
	s_cbranch_execnz .LBB0_134
; %bb.135:                              ;   in Loop: Header=BB0_113 Depth=3
	s_or_b64 exec, exec, s[50:51]
	v_and_b32_e32 v18, -2, v39
	v_cmp_ne_u32_e32 vcc, v39, v18
	v_add_u32_e32 v49, 2, v18
	v_mul_lo_u32 v2, v2, v3
	s_orn2_b64 s[8:9], vcc, exec
.LBB0_136:                              ;   in Loop: Header=BB0_113 Depth=3
	s_or_b64 exec, exec, s[92:93]
	s_and_saveexec_b64 s[50:51], s[8:9]
	s_cbranch_execz .LBB0_111
; %bb.137:                              ;   in Loop: Header=BB0_113 Depth=3
	s_mov_b64 s[8:9], 0
.LBB0_138:                              ;   Parent Loop BB0_88 Depth=1
                                        ;     Parent Loop BB0_108 Depth=2
                                        ;       Parent Loop BB0_113 Depth=3
                                        ; =>      This Inner Loop Header: Depth=4
	v_mul_lo_u32 v2, v2, v49
	v_add_u32_e32 v49, 1, v49
	v_cmp_eq_u32_e32 vcc, v41, v49
	s_or_b64 s[8:9], vcc, s[8:9]
	s_andn2_b64 exec, exec, s[8:9]
	s_cbranch_execnz .LBB0_138
	s_branch .LBB0_110
.LBB0_139:                              ;   in Loop: Header=BB0_108 Depth=2
	s_or_b64 exec, exec, s[96:97]
	v_mov_b32_e32 v14, 1
	s_and_saveexec_b64 s[34:35], s[20:21]
	s_cbranch_execz .LBB0_150
.LBB0_140:                              ;   in Loop: Header=BB0_108 Depth=2
	s_mov_b64 vcc, -1
	v_mov_b32_e32 v14, 1
	v_mov_b32_e32 v1, 2
	s_and_saveexec_b64 s[90:91], s[70:71]
	s_cbranch_execz .LBB0_144
; %bb.141:                              ;   in Loop: Header=BB0_108 Depth=2
	s_mov_b32 s92, 1
	s_mov_b32 s8, 3
	;; [unrolled: 1-line block ×3, first 2 shown]
	s_mov_b64 s[94:95], 0
	v_accvgpr_read_b32 v1, a44
	s_mov_b32 s93, s92
.LBB0_142:                              ;   Parent Loop BB0_88 Depth=1
                                        ;     Parent Loop BB0_108 Depth=2
                                        ; =>    This Inner Loop Header: Depth=3
	v_add_u32_e32 v1, -2, v1
	s_mul_i32 s93, s93, s8
	s_mul_i32 s92, s92, s9
	s_add_i32 s9, s9, 2
	s_add_i32 s8, s8, 2
	v_cmp_eq_u32_e32 vcc, 0, v1
	s_or_b64 s[94:95], vcc, s[94:95]
	v_pk_mov_b32 v[2:3], s[92:93], s[92:93] op_sel:[0,1]
	s_andn2_b64 exec, exec, s[94:95]
	s_cbranch_execnz .LBB0_142
; %bb.143:                              ;   in Loop: Header=BB0_108 Depth=2
	s_or_b64 exec, exec, s[94:95]
	v_mul_lo_u32 v14, v2, v3
	s_orn2_b64 vcc, s[72:73], exec
	v_accvgpr_read_b32 v1, a51
.LBB0_144:                              ;   in Loop: Header=BB0_108 Depth=2
	s_or_b64 exec, exec, s[90:91]
	s_and_saveexec_b64 s[50:51], vcc
	s_cbranch_execz .LBB0_148
; %bb.145:                              ;   in Loop: Header=BB0_108 Depth=2
	s_mov_b64 s[8:9], 0
.LBB0_146:                              ;   Parent Loop BB0_88 Depth=1
                                        ;     Parent Loop BB0_108 Depth=2
                                        ; =>    This Inner Loop Header: Depth=3
	v_mul_lo_u32 v14, v14, v1
	v_add_u32_e32 v1, 1, v1
	v_cmp_eq_u32_e32 vcc, v11, v1
	s_or_b64 s[8:9], vcc, s[8:9]
	s_andn2_b64 exec, exec, s[8:9]
	s_cbranch_execnz .LBB0_146
; %bb.147:                              ;   in Loop: Header=BB0_108 Depth=2
	s_or_b64 exec, exec, s[8:9]
.LBB0_148:                              ;   in Loop: Header=BB0_108 Depth=2
	s_or_b64 exec, exec, s[50:51]
	s_or_b64 exec, exec, s[34:35]
	s_cmp_lt_u32 s46, 2
	s_mov_b32 s47, 1
	s_cbranch_scc1 .LBB0_158
	s_branch .LBB0_151
.LBB0_149:                              ;   in Loop: Header=BB0_108 Depth=2
	s_or_b64 exec, exec, s[34:35]
	s_or_b64 exec, exec, s[96:97]
	v_mov_b32_e32 v14, 1
	s_and_saveexec_b64 s[34:35], s[20:21]
	s_cbranch_execnz .LBB0_140
.LBB0_150:                              ;   in Loop: Header=BB0_108 Depth=2
	s_or_b64 exec, exec, s[34:35]
	s_cmp_lt_u32 s46, 2
	s_mov_b32 s47, 1
	s_cbranch_scc1 .LBB0_158
.LBB0_151:                              ;   in Loop: Header=BB0_108 Depth=2
	s_cmp_eq_u32 s46, 2
	s_mov_b32 s34, 2
	s_cbranch_scc1 .LBB0_155
; %bb.152:                              ;   in Loop: Header=BB0_108 Depth=2
	s_and_b32 s9, s27, -2
	s_mov_b32 s8, 1
	s_mov_b32 vcc_lo, 3
	s_mov_b32 vcc_hi, 2
	s_mov_b32 s35, 1
.LBB0_153:                              ;   Parent Loop BB0_88 Depth=1
                                        ;     Parent Loop BB0_108 Depth=2
                                        ; =>    This Inner Loop Header: Depth=3
	s_mul_i32 s35, s35, vcc_lo
	s_mul_i32 s8, s8, vcc_hi
	s_add_i32 vcc_hi, vcc_hi, 2
	s_add_i32 vcc_lo, vcc_lo, 2
	s_add_i32 s9, s9, -2
	s_cmp_lg_u32 s9, 0
	s_cbranch_scc1 .LBB0_153
; %bb.154:                              ;   in Loop: Header=BB0_108 Depth=2
	s_add_i32 s9, s46, -1
	s_and_b32 vcc_lo, s9, -2
	s_add_i32 s34, vcc_lo, 2
	s_cmp_lg_u32 s9, vcc_lo
	s_mul_i32 s47, s8, s35
	s_cselect_b64 s[8:9], -1, 0
	s_and_b64 vcc, exec, s[8:9]
	s_cbranch_vccnz .LBB0_156
	s_branch .LBB0_158
.LBB0_155:                              ;   in Loop: Header=BB0_108 Depth=2
	s_cbranch_execz .LBB0_158
.LBB0_156:                              ;   in Loop: Header=BB0_108 Depth=2
	s_add_i32 s8, s46, 1
.LBB0_157:                              ;   Parent Loop BB0_88 Depth=1
                                        ;     Parent Loop BB0_108 Depth=2
                                        ; =>    This Inner Loop Header: Depth=3
	s_mul_i32 s47, s47, s34
	s_add_i32 s34, s34, 1
	s_cmp_lg_u32 s8, s34
	s_cbranch_scc1 .LBB0_157
.LBB0_158:                              ;   in Loop: Header=BB0_108 Depth=2
	v_accvgpr_read_b32 v1, a11
	v_subrev_u32_e32 v1, s46, v1
	v_cmp_lt_i32_e32 vcc, 1, v1
	v_mov_b32_e32 v2, 1
	s_and_saveexec_b64 s[34:35], vcc
	s_cbranch_execz .LBB0_107
; %bb.159:                              ;   in Loop: Header=BB0_108 Depth=2
	v_accvgpr_read_b32 v2, a42
	v_subrev_u32_e32 v15, s46, v2
	s_mov_b32 s92, 1
	v_cmp_lt_u32_e32 vcc, 1, v15
	s_mov_b64 s[94:95], -1
	v_mov_b32_e32 v2, 1
	v_mov_b32_e32 v22, 2
	s_and_saveexec_b64 s[90:91], vcc
	s_cbranch_execz .LBB0_163
; %bb.160:                              ;   in Loop: Header=BB0_108 Depth=2
	v_and_b32_e32 v19, -2, v9
	s_mov_b32 s8, 3
	s_mov_b32 s9, 2
	s_mov_b64 s[94:95], 0
	s_mov_b32 s93, s92
.LBB0_161:                              ;   Parent Loop BB0_88 Depth=1
                                        ;     Parent Loop BB0_108 Depth=2
                                        ; =>    This Inner Loop Header: Depth=3
	v_add_u32_e32 v19, -2, v19
	s_mul_i32 s93, s93, s8
	s_mul_i32 s92, s92, s9
	s_add_i32 s9, s9, 2
	s_add_i32 s8, s8, 2
	v_cmp_eq_u32_e32 vcc, 0, v19
	s_or_b64 s[94:95], vcc, s[94:95]
	v_pk_mov_b32 v[2:3], s[92:93], s[92:93] op_sel:[0,1]
	s_andn2_b64 exec, exec, s[94:95]
	s_cbranch_execnz .LBB0_161
; %bb.162:                              ;   in Loop: Header=BB0_108 Depth=2
	s_or_b64 exec, exec, s[94:95]
	v_and_b32_e32 v18, -2, v15
	v_cmp_ne_u32_e32 vcc, v15, v18
	v_add_u32_e32 v22, 2, v18
	v_mul_lo_u32 v2, v2, v3
	s_orn2_b64 s[94:95], vcc, exec
.LBB0_163:                              ;   in Loop: Header=BB0_108 Depth=2
	s_or_b64 exec, exec, s[90:91]
	s_and_saveexec_b64 s[50:51], s[94:95]
	s_cbranch_execz .LBB0_106
; %bb.164:                              ;   in Loop: Header=BB0_108 Depth=2
	s_mov_b64 s[8:9], 0
.LBB0_165:                              ;   Parent Loop BB0_88 Depth=1
                                        ;     Parent Loop BB0_108 Depth=2
                                        ; =>    This Inner Loop Header: Depth=3
	v_mul_lo_u32 v2, v2, v22
	v_add_u32_e32 v22, 1, v22
	v_cmp_eq_u32_e32 vcc, v37, v22
	s_or_b64 s[8:9], vcc, s[8:9]
	s_andn2_b64 exec, exec, s[8:9]
	s_cbranch_execnz .LBB0_165
; %bb.166:                              ;   in Loop: Header=BB0_108 Depth=2
	s_or_b64 exec, exec, s[8:9]
	s_branch .LBB0_106
.LBB0_167:                              ;   in Loop: Header=BB0_88 Depth=1
	s_or_b64 exec, exec, s[28:29]
	v_accvgpr_read_b32 v37, a26
.LBB0_168:                              ;   in Loop: Header=BB0_88 Depth=1
	s_or_b64 exec, exec, s[12:13]
	v_accvgpr_read_b32 v1, a28
	v_mul_f32_e32 v1, v1, v35
	v_cvt_f64_f32_e32 v[2:3], v1
	v_accvgpr_read_b32 v1, a29
	v_mul_f32_e32 v1, v1, v43
	v_cvt_f64_f32_e32 v[14:15], v1
	v_fmac_f64_e32 v[2:3], 2.0, v[14:15]
	v_cvt_f32_f64_e32 v1, v[2:3]
	buffer_store_dword a32, off, s[0:3], s32 offset:192
	s_mov_b64 s[8:9], exec
	v_readlane_b32 s12, v61, 14
	v_readlane_b32 s13, v61, 15
	s_and_b64 s[12:13], s[8:9], s[12:13]
	s_mov_b64 exec, s[12:13]
	s_cbranch_execz .LBB0_170
; %bb.169:                              ;   in Loop: Header=BB0_88 Depth=1
	v_accvgpr_read_b32 v2, a32
	v_mul_f32_e32 v2, v2, v1
	buffer_store_dword v2, off, s[0:3], s32 offset:220
.LBB0_170:                              ;   in Loop: Header=BB0_88 Depth=1
	s_or_b64 exec, exec, s[8:9]
	v_accvgpr_read_b32 v2, a30
	v_accvgpr_read_b32 v9, a31
	v_mul_f32_e32 v2, v2, v35
	v_mul_f32_e32 v9, v9, v43
	v_cvt_f64_f32_e32 v[2:3], v2
	v_cvt_f64_f32_e32 v[14:15], v9
	v_fmac_f64_e32 v[2:3], 2.0, v[14:15]
	v_cvt_f32_f64_e32 v2, v[2:3]
	s_mov_b64 s[8:9], exec
	v_readlane_b32 s12, v61, 16
	v_readlane_b32 s13, v61, 17
	s_and_b64 s[12:13], s[8:9], s[12:13]
	s_mov_b64 exec, s[12:13]
	s_cbranch_execz .LBB0_172
; %bb.171:                              ;   in Loop: Header=BB0_88 Depth=1
	v_accvgpr_read_b32 v3, a32
	v_mul_f32_e32 v3, v3, v2
	buffer_store_dword v3, off, s[0:3], s32 offset:196
.LBB0_172:                              ;   in Loop: Header=BB0_88 Depth=1
	s_or_b64 exec, exec, s[8:9]
	s_mov_b64 s[12:13], exec
	v_readlane_b32 s8, v61, 12
	v_readlane_b32 s9, v61, 13
	s_and_b64 s[8:9], s[12:13], s[8:9]
	s_mov_b64 exec, s[8:9]
	s_cbranch_execz .LBB0_175
; %bb.173:                              ;   in Loop: Header=BB0_88 Depth=1
	buffer_load_dword v9, off, s[0:3], s32 offset:220
	v_lshrrev_b32_e64 v3, 6, s32
	v_add_u32_e32 v3, 0xc0, v3
	s_mov_b32 s8, 1
	s_mov_b64 s[28:29], 0
.LBB0_174:                              ;   Parent Loop BB0_88 Depth=1
                                        ; =>  This Inner Loop Header: Depth=2
	buffer_load_dword v13, v3, s[0:3], 0 offen
	v_cvt_f32_i32_e32 v14, s8
	s_add_i32 s8, s8, 1
	v_cmp_eq_u32_e32 vcc, s8, v37
	s_or_b64 s[28:29], vcc, s[28:29]
	v_mul_f32_e32 v14, v36, v14
	s_waitcnt vmcnt(0)
	v_mul_f32_e32 v13, v13, v14
	v_fmac_f32_e32 v13, v9, v1
	buffer_store_dword v13, v3, s[0:3], 0 offen offset:56
	v_add_u32_e32 v3, 28, v3
	v_mov_b32_e32 v9, v13
	s_andn2_b64 exec, exec, s[28:29]
	s_cbranch_execnz .LBB0_174
.LBB0_175:                              ;   in Loop: Header=BB0_88 Depth=1
	s_or_b64 exec, exec, s[12:13]
	s_and_saveexec_b64 s[12:13], s[30:31]
	s_cbranch_execz .LBB0_178
; %bb.176:                              ;   in Loop: Header=BB0_88 Depth=1
	buffer_load_dword v9, off, s[0:3], s32 offset:196
	s_mov_b32 s8, 1
	s_mov_b64 s[28:29], 0
	v_accvgpr_read_b32 v1, a55
	v_accvgpr_read_b32 v3, a32
	s_waitcnt vmcnt(0)
.LBB0_177:                              ;   Parent Loop BB0_88 Depth=1
                                        ; =>  This Inner Loop Header: Depth=2
	v_mov_b32_e32 v13, v9
	v_cvt_f32_i32_e32 v9, s8
	s_add_i32 s8, s8, 1
	v_cmp_eq_u32_e32 vcc, s8, v51
	s_or_b64 s[28:29], vcc, s[28:29]
	v_mul_f32_e32 v9, v48, v9
	v_mul_f32_e32 v9, v3, v9
	v_fmac_f32_e32 v9, v13, v2
	v_mov_b32_e32 v3, v13
	buffer_store_dword v9, v1, s[0:3], 0 offen
	v_add_u32_e32 v1, 4, v1
	s_andn2_b64 exec, exec, s[28:29]
	s_cbranch_execnz .LBB0_177
.LBB0_178:                              ;   in Loop: Header=BB0_88 Depth=1
	s_or_b64 exec, exec, s[12:13]
	s_mov_b64 s[12:13], exec
	v_readlane_b32 s8, v61, 18
	v_readlane_b32 s9, v61, 19
	s_and_b64 s[8:9], s[12:13], s[8:9]
	s_mov_b64 exec, s[8:9]
	s_cbranch_execz .LBB0_184
; %bb.179:                              ;   in Loop: Header=BB0_88 Depth=1
	s_mov_b32 s8, 1
	s_mov_b64 s[28:29], 0
	v_accvgpr_read_b32 v1, a49
	s_branch .LBB0_181
.LBB0_180:                              ;   in Loop: Header=BB0_181 Depth=2
	s_or_b64 exec, exec, s[34:35]
	s_add_i32 s9, s8, 1
	v_cmp_eq_u32_e32 vcc, s8, v37
	v_add_u32_e32 v1, 28, v1
	s_or_b64 s[28:29], vcc, s[28:29]
	s_mov_b32 s8, s9
	s_andn2_b64 exec, exec, s[28:29]
	s_cbranch_execz .LBB0_184
.LBB0_181:                              ;   Parent Loop BB0_88 Depth=1
                                        ; =>  This Loop Header: Depth=2
                                        ;       Child Loop BB0_183 Depth 3
	s_mul_i32 s9, s8, 28
	v_add_u32_e32 v13, s9, v4
	v_subrev_u32_e32 v3, 28, v13
	buffer_load_dword v14, v13, s[0:3], 0 offen
	buffer_load_dword v15, v3, s[0:3], 0 offen
	v_cvt_f32_u32_e32 v3, s8
	v_mul_f32_e32 v3, v43, v3
	s_waitcnt vmcnt(1)
	v_mul_f32_e32 v9, v14, v2
	s_waitcnt vmcnt(0)
	v_fmac_f32_e32 v9, v15, v3
	buffer_store_dword v9, v13, s[0:3], 0 offen offset:4
	s_and_saveexec_b64 s[34:35], s[30:31]
	s_cbranch_execz .LBB0_180
; %bb.182:                              ;   in Loop: Header=BB0_181 Depth=2
	s_mov_b32 s9, 1
	s_mov_b64 s[90:91], 0
	v_mov_b32_e32 v13, v1
.LBB0_183:                              ;   Parent Loop BB0_88 Depth=1
                                        ;     Parent Loop BB0_181 Depth=2
                                        ; =>    This Inner Loop Header: Depth=3
	v_mov_b32_e32 v15, v9
	v_cvt_f32_i32_e32 v9, s9
	s_add_i32 s9, s9, 1
	v_cmp_eq_u32_e32 vcc, s9, v51
	s_or_b64 s[90:91], vcc, s[90:91]
	v_mul_f32_e32 v9, v48, v9
	v_mul_f32_e32 v9, v14, v9
	buffer_load_dword v14, v13, s[0:3], 0 offen
	s_waitcnt vmcnt(0)
	v_fmac_f32_e32 v9, v3, v14
	v_fmac_f32_e32 v9, v15, v2
	buffer_store_dword v9, v13, s[0:3], 0 offen offset:32
	v_add_u32_e32 v13, 4, v13
	v_mov_b32_e32 v14, v15
	s_andn2_b64 exec, exec, s[90:91]
	s_cbranch_execnz .LBB0_183
	s_branch .LBB0_180
.LBB0_184:                              ;   in Loop: Header=BB0_88 Depth=1
	s_or_b64 exec, exec, s[12:13]
	v_mov_b32_e32 v37, 0
	s_mov_b64 s[12:13], exec
	v_readlane_b32 s8, v61, 20
	v_readlane_b32 s9, v61, 21
	s_and_b64 s[8:9], s[12:13], s[8:9]
	s_mov_b64 exec, s[8:9]
	s_cbranch_execz .LBB0_248
; %bb.185:                              ;   in Loop: Header=BB0_88 Depth=1
	s_mov_b32 s46, 0
	s_mov_b32 s27, -1
	s_mov_b64 s[28:29], 0
	v_mov_b32_e32 v37, 0
	v_mov_b32_e32 v13, v8
	v_accvgpr_read_b32 v9, a41
	s_branch .LBB0_188
.LBB0_186:                              ;   in Loop: Header=BB0_188 Depth=2
	s_or_b64 exec, exec, s[50:51]
.LBB0_187:                              ;   in Loop: Header=BB0_188 Depth=2
	s_or_b64 exec, exec, s[34:35]
	v_mul_lo_u32 v2, v2, s47
	v_sub_u32_e32 v3, 0, v2
	v_max_i32_e32 v3, v2, v3
	v_cvt_f32_u32_e32 v18, v3
	v_sub_u32_e32 v19, 0, v14
	v_xor_b32_e32 v2, v14, v2
	v_max_i32_e32 v14, v14, v19
	v_rcp_iflag_f32_e32 v18, v18
	v_sub_u32_e32 v19, 0, v3
	v_ashrrev_i32_e32 v2, 31, v2
	v_accvgpr_read_b32 v49, a27
	v_mul_f32_e32 v18, 0x4f7ffffe, v18
	v_cvt_u32_f32_e32 v18, v18
	s_add_i32 s27, s27, 1
	v_add_u32_e32 v9, -1, v9
	v_add_u32_e32 v13, -1, v13
	v_mul_lo_u32 v19, v19, v18
	v_mul_hi_u32 v19, v18, v19
	v_add_u32_e32 v18, v18, v19
	v_mul_hi_u32 v18, v14, v18
	v_mul_lo_u32 v19, v18, v3
	v_sub_u32_e32 v14, v14, v19
	v_cmp_ge_u32_e32 vcc, v14, v3
	v_sub_u32_e32 v19, v14, v3
	v_add_u32_e32 v22, 1, v18
	v_cndmask_b32_e32 v14, v14, v19, vcc
	v_cndmask_b32_e32 v18, v18, v22, vcc
	v_cmp_ge_u32_e32 vcc, v14, v3
	v_cvt_f32_i32_e32 v14, v1
	v_add_u32_e32 v19, 1, v18
	v_cndmask_b32_e32 v3, v18, v19, vcc
	v_xor_b32_e32 v1, v3, v2
	v_cndmask_b32_e64 v14, v14, 1.0, s[44:45]
	v_cmp_eq_f32_e32 vcc, 0, v14
	v_cndmask_b32_e64 v22, |v49|, 1.0, vcc
	v_sub_u32_e32 v1, v1, v2
	v_frexp_mant_f32_e32 v2, v22
	v_cmp_gt_f32_e64 s[90:91], s7, v2
	v_cndmask_b32_e64 v3, 1.0, 2.0, s[90:91]
	v_mul_f32_e32 v2, v2, v3
	v_add_f32_e32 v19, 1.0, v2
	v_rcp_f32_e32 v23, v19
	v_add_f32_e32 v3, -1.0, v19
	v_sub_f32_e32 v25, v2, v3
	v_add_f32_e32 v3, -1.0, v2
	s_waitcnt vmcnt(2)
	v_mul_f32_e32 v28, v3, v23
	v_mul_f32_e32 v18, v19, v28
	v_fma_f32 v24, v28, v19, -v18
	v_fmac_f32_e32 v24, v28, v25
	v_add_f32_e32 v2, v18, v24
	v_sub_f32_e32 v19, v3, v2
	v_pk_add_f32 v[26:27], v[2:3], v[18:19] neg_lo:[0,1] neg_hi:[0,1]
	v_mov_b32_e32 v25, v2
	v_pk_add_f32 v[2:3], v[26:27], v[24:25] neg_lo:[0,1] neg_hi:[0,1]
	v_add_f32_e32 v2, v2, v3
	v_add_f32_e32 v2, v19, v2
	v_mul_f32_e32 v3, v23, v2
	v_add_f32_e32 v2, v28, v3
	v_sub_f32_e32 v18, v2, v28
	v_sub_f32_e32 v23, v3, v18
	v_mul_f32_e32 v3, v2, v2
	v_fma_f32 v19, v2, v2, -v3
	v_add_f32_e32 v18, v23, v23
	v_fmac_f32_e32 v19, v2, v18
	v_add_f32_e32 v18, v3, v19
	v_mov_b32_e32 v24, 0x3e91f4c4
	v_fmac_f32_e32 v24, 0x3e76c4e1, v18
	v_fma_f32 v24, v18, v24, v42
	v_sub_f32_e32 v3, v18, v3
	v_sub_f32_e32 v30, v19, v3
	v_mul_f32_e32 v3, v18, v24
	v_fma_f32 v19, v18, v24, -v3
	v_fmac_f32_e32 v19, v30, v24
	v_add_f32_e32 v24, v3, v19
	v_add_f32_e32 v25, 0x3f2aaaaa, v24
	v_sub_f32_e32 v3, v24, v3
	v_sub_f32_e32 v3, v19, v3
	v_add_f32_e32 v19, 0xbf2aaaaa, v25
	v_add_f32_e32 v3, 0x31739010, v3
	v_sub_f32_e32 v19, v24, v19
	v_pk_mul_f32 v[26:27], v[2:3], v[18:19]
	v_fma_f32 v24, v18, v2, -v26
	v_pk_add_f32 v[28:29], v[2:3], v[18:19]
	v_fmac_f32_e32 v24, v18, v23
	v_mov_b32_e32 v27, v29
	v_fmac_f32_e32 v24, v30, v2
	v_pk_add_f32 v[18:19], v[26:27], v[24:25]
	v_sub_f32_e32 v3, v18, v26
	v_sub_f32_e32 v3, v24, v3
	;; [unrolled: 1-line block ×3, first 2 shown]
	v_add_f32_e32 v28, v29, v24
	v_mov_b32_e32 v24, v19
	v_pk_mul_f32 v[24:25], v[18:19], v[24:25]
	v_cvt_f64_f32_e32 v[26:27], v22
	v_frexp_exp_i32_f64_e32 v25, v[26:27]
	v_subbrev_co_u32_e64 v25, s[90:91], 0, v25, s[90:91]
	v_cvt_f32_i32_e32 v25, v25
	v_fma_f32 v26, v18, v19, -v24
	v_fmac_f32_e32 v26, v18, v28
	v_fmac_f32_e32 v26, v3, v19
	v_mul_f32_e32 v18, 0x3f317218, v25
	v_fma_f32 v28, v25, s24, -v18
	v_fmac_f32_e32 v28, 0xb102e308, v25
	v_ldexp_f32 v29, v2, 1
	v_add_f32_e32 v19, v24, v26
	v_pk_add_f32 v[2:3], v[18:19], v[28:29]
	v_mov_b32_e32 v30, v19
	v_mov_b32_e32 v31, v3
	;; [unrolled: 1-line block ×3, first 2 shown]
	v_pk_add_f32 v[24:25], v[30:31], v[24:25] neg_lo:[0,1] neg_hi:[0,1]
	v_mov_b32_e32 v27, v19
	v_ldexp_f32 v23, v23, 1
	v_pk_add_f32 v[24:25], v[26:27], v[24:25] neg_lo:[0,1] neg_hi:[0,1]
	v_add_f32_e32 v19, v23, v24
	v_add_f32_e32 v19, v19, v25
	v_pk_add_f32 v[24:25], v[2:3], v[18:19] neg_lo:[0,1] neg_hi:[0,1]
	v_pk_add_f32 v[26:27], v[2:3], v[18:19]
	v_mov_b32_e32 v30, v24
	v_mov_b32_e32 v31, v27
	;; [unrolled: 1-line block ×3, first 2 shown]
	v_pk_add_f32 v[30:31], v[28:29], v[30:31]
	v_mov_b32_e32 v18, v31
	v_pk_add_f32 v[32:33], v[18:19], v[2:3] neg_lo:[0,1] neg_hi:[0,1]
	v_mov_b32_e32 v23, v32
	v_mov_b32_e32 v30, v27
	;; [unrolled: 1-line block ×4, first 2 shown]
	v_pk_add_f32 v[24:25], v[28:29], v[24:25] neg_lo:[0,1] neg_hi:[0,1]
	v_pk_add_f32 v[38:39], v[26:27], v[22:23] neg_lo:[0,1] neg_hi:[0,1]
	;; [unrolled: 1-line block ×3, first 2 shown]
	v_mov_b32_e32 v28, v19
	v_pk_add_f32 v[2:3], v[28:29], v[2:3] neg_lo:[0,1] neg_hi:[0,1]
	v_mov_b32_e32 v38, v24
	v_pk_add_f32 v[26:27], v[38:39], v[2:3]
	v_mov_b32_e32 v28, v27
	v_pk_add_f32 v[28:29], v[26:27], v[28:29]
	v_pk_add_f32 v[18:19], v[18:19], v[28:29]
	v_mov_b32_e32 v25, v31
	v_mov_b32_e32 v27, v18
	v_pk_add_f32 v[30:31], v[26:27], v[24:25] neg_lo:[0,1] neg_hi:[0,1]
	v_mov_b32_e32 v3, v28
	v_sub_f32_e32 v19, v26, v30
	v_pk_add_f32 v[2:3], v[2:3], v[30:31] neg_lo:[0,1] neg_hi:[0,1]
	v_sub_f32_e32 v19, v24, v19
	v_add_f32_e32 v2, v2, v19
	v_add_f32_e32 v2, v2, v3
	;; [unrolled: 1-line block ×3, first 2 shown]
	v_sub_f32_e32 v18, v3, v18
	v_sub_f32_e32 v2, v2, v18
	v_mul_f32_e32 v18, v14, v3
	v_fma_f32 v3, v14, v3, -v18
	v_fmac_f32_e32 v3, v14, v2
	v_add_f32_e32 v2, v18, v3
	v_cmp_class_f32_e64 s[90:91], v18, s25
	v_sub_f32_e32 v19, v2, v18
	v_cndmask_b32_e64 v2, v2, v18, s[90:91]
	v_cmp_eq_f32_e64 s[90:91], s5, v2
	v_cndmask_b32_e64 v18, 0, v47, s[90:91]
	v_sub_f32_e32 v3, v3, v19
	v_sub_f32_e32 v19, v2, v18
	v_mul_f32_e32 v23, 0x3fb8aa3b, v19
	v_fma_f32 v24, v19, s55, -v23
	v_rndne_f32_e32 v25, v23
	v_fmac_f32_e32 v24, 0x32a5705f, v19
	v_sub_f32_e32 v23, v23, v25
	v_add_f32_e32 v23, v23, v24
	v_exp_f32_e32 v23, v23
	v_cvt_i32_f32_e32 v24, v25
	v_cmp_neq_f32_e64 s[90:91], |v2|, s6
	v_cndmask_b32_e64 v2, 0, v3, s[90:91]
	v_cmp_ngt_f32_e64 s[90:91], s4, v19
	v_ldexp_f32 v3, v23, v24
	v_cndmask_b32_e64 v3, 0, v3, s[90:91]
	v_cmp_nlt_f32_e64 s[90:91], s5, v19
	v_add_f32_e32 v2, v18, v2
	v_cndmask_b32_e64 v3, v17, v3, s[90:91]
	v_fma_f32 v2, v3, v2, v3
	v_cmp_class_f32_e64 s[90:91], v3, s25
	v_trunc_f32_e32 v18, v14
	v_cndmask_b32_e64 v2, v2, v3, s[90:91]
	v_cndmask_b32_e64 v3, v49, 1.0, vcc
	v_cmp_eq_f32_e32 vcc, v18, v14
	v_mul_f32_e32 v18, 0.5, v14
	v_trunc_f32_e32 v19, v18
	v_cmp_neq_f32_e64 s[90:91], v19, v18
	s_and_b64 s[90:91], vcc, s[90:91]
	v_cndmask_b32_e64 v18, 1.0, v3, s[90:91]
	v_bfi_b32 v2, s26, v2, v18
	v_cmp_eq_f32_e64 s[92:93], 0, v3
	v_cmp_gt_f32_e64 s[94:95], 0, v14
	v_cndmask_b32_e32 v18, v50, v2, vcc
	v_cmp_gt_f32_e32 vcc, 0, v3
	s_xor_b64 s[8:9], s[94:95], s[92:93]
	v_cvt_f32_i32_e32 v1, v1
	v_cndmask_b32_e32 v2, v2, v18, vcc
	v_cmp_eq_f32_e32 vcc, s6, v22
	v_cndmask_b32_e64 v14, v17, 0, s[8:9]
	v_cndmask_b32_e64 v18, 0, v3, s[90:91]
	v_bfi_b32 v14, s26, v14, v18
	s_or_b64 vcc, vcc, s[92:93]
	v_cndmask_b32_e32 v2, v2, v14, vcc
	v_cmp_o_f32_e32 vcc, v3, v3
	v_cndmask_b32_e32 v2, v50, v2, vcc
	v_mul_f32_e32 v1, v2, v1
	v_fmac_f32_e32 v37, v15, v1
	v_accvgpr_read_b32 v1, a12
	s_add_i32 s8, s46, 1
	v_cmp_eq_u32_e32 vcc, s46, v1
	s_or_b64 s[28:29], vcc, s[28:29]
	s_mov_b32 s46, s8
	s_andn2_b64 exec, exec, s[28:29]
	s_cbranch_execz .LBB0_247
.LBB0_188:                              ;   Parent Loop BB0_88 Depth=1
                                        ; =>  This Loop Header: Depth=2
                                        ;       Child Loop BB0_193 Depth 3
                                        ;         Child Loop BB0_196 Depth 4
                                        ;         Child Loop BB0_200 Depth 4
	;; [unrolled: 1-line block ×6, first 2 shown]
                                        ;       Child Loop BB0_222 Depth 3
                                        ;       Child Loop BB0_226 Depth 3
                                        ;       Child Loop BB0_233 Depth 3
                                        ;       Child Loop BB0_237 Depth 3
                                        ;       Child Loop BB0_241 Depth 3
                                        ;       Child Loop BB0_245 Depth 3
	v_mov_b32_e32 v15, 0
	s_and_saveexec_b64 s[96:97], s[36:37]
	s_cbranch_execz .LBB0_219
; %bb.189:                              ;   in Loop: Header=BB0_188 Depth=2
	v_accvgpr_read_b32 v1, a1
	v_add_u32_e32 v1, s46, v1
	s_mov_b32 s48, 0
	s_mov_b32 s47, -1
	s_mov_b64 s[34:35], 0
	v_mov_b32_e32 v15, 0
	v_lshlrev_b32_e32 v41, 2, v1
	v_mov_b32_e32 v14, v55
	v_mov_b32_e32 v22, v59
	s_branch .LBB0_193
.LBB0_190:                              ;   in Loop: Header=BB0_193 Depth=3
	s_or_b64 exec, exec, s[8:9]
.LBB0_191:                              ;   in Loop: Header=BB0_193 Depth=3
	s_or_b64 exec, exec, s[50:51]
.LBB0_192:                              ;   in Loop: Header=BB0_193 Depth=3
	s_or_b64 exec, exec, s[90:91]
	v_mul_lo_u32 v2, v2, s49
	v_sub_u32_e32 v19, 0, v2
	v_xor_b32_e32 v3, v39, v2
	v_max_i32_e32 v2, v2, v19
	v_cvt_f32_u32_e32 v19, v2
	v_sub_u32_e32 v23, 0, v2
	v_sub_u32_e32 v18, 0, v39
	v_max_i32_e32 v18, v39, v18
	v_rcp_iflag_f32_e32 v19, v19
	v_cvt_f32_i32_e32 v1, v1
	v_ashrrev_i32_e32 v3, 31, v3
	s_add_i32 s47, s47, 1
	v_mul_f32_e32 v19, 0x4f7ffffe, v19
	v_cvt_u32_f32_e32 v19, v19
	v_cndmask_b32_e64 v1, v1, 1.0, s[40:41]
	v_cmp_gt_f32_e64 s[94:95], 0, v1
	v_add_u32_e32 v14, -1, v14
	v_mul_lo_u32 v23, v23, v19
	v_mul_hi_u32 v23, v19, v23
	v_add_u32_e32 v19, v19, v23
	v_mul_hi_u32 v19, v18, v19
	v_mul_lo_u32 v23, v19, v2
	v_sub_u32_e32 v18, v18, v23
	v_cmp_ge_u32_e32 vcc, v18, v2
	v_add_u32_e32 v23, 1, v19
	v_cndmask_b32_e32 v19, v19, v23, vcc
	v_sub_u32_e32 v23, v18, v2
	v_cndmask_b32_e32 v18, v18, v23, vcc
	v_cmp_ge_u32_e32 vcc, v18, v2
	v_add_u32_e32 v2, 1, v19
	v_cndmask_b32_e32 v2, v19, v2, vcc
	v_xor_b32_e32 v2, v2, v3
	v_cmp_eq_f32_e32 vcc, 0, v1
	v_sub_u32_e32 v2, v2, v3
	v_cndmask_b32_e64 v49, |v52|, 1.0, vcc
	v_cvt_f32_i32_e32 v39, v2
	v_frexp_mant_f32_e32 v2, v49
	v_cmp_gt_f32_e64 s[90:91], s7, v2
	v_cndmask_b32_e64 v3, 1.0, 2.0, s[90:91]
	v_mul_f32_e32 v2, v2, v3
	v_add_f32_e32 v19, 1.0, v2
	s_waitcnt vmcnt(2)
	v_rcp_f32_e32 v28, v19
	v_add_f32_e32 v3, -1.0, v19
	v_sub_f32_e32 v23, v2, v3
	v_add_f32_e32 v3, -1.0, v2
	v_mul_f32_e32 v29, v3, v28
	v_mul_f32_e32 v18, v19, v29
	v_fma_f32 v24, v29, v19, -v18
	v_fmac_f32_e32 v24, v29, v23
	v_add_f32_e32 v2, v18, v24
	v_sub_f32_e32 v19, v3, v2
	v_pk_add_f32 v[26:27], v[2:3], v[18:19] neg_lo:[0,1] neg_hi:[0,1]
	v_mov_b32_e32 v25, v2
	v_pk_add_f32 v[2:3], v[26:27], v[24:25] neg_lo:[0,1] neg_hi:[0,1]
	v_add_f32_e32 v2, v2, v3
	v_add_f32_e32 v2, v19, v2
	v_mul_f32_e32 v3, v28, v2
	v_add_f32_e32 v2, v29, v3
	v_sub_f32_e32 v18, v2, v29
	v_sub_f32_e32 v23, v3, v18
	v_mul_f32_e32 v3, v2, v2
	v_fma_f32 v19, v2, v2, -v3
	v_add_f32_e32 v18, v23, v23
	v_fmac_f32_e32 v19, v2, v18
	v_add_f32_e32 v18, v3, v19
	v_mov_b32_e32 v24, 0x3e91f4c4
	v_fmac_f32_e32 v24, 0x3e76c4e1, v18
	v_fma_f32 v24, v18, v24, v42
	v_sub_f32_e32 v3, v18, v3
	v_sub_f32_e32 v30, v19, v3
	v_mul_f32_e32 v3, v18, v24
	v_fma_f32 v19, v18, v24, -v3
	v_fmac_f32_e32 v19, v30, v24
	v_add_f32_e32 v24, v3, v19
	v_add_f32_e32 v25, 0x3f2aaaaa, v24
	v_sub_f32_e32 v3, v24, v3
	v_sub_f32_e32 v3, v19, v3
	v_add_f32_e32 v19, 0xbf2aaaaa, v25
	v_add_f32_e32 v3, 0x31739010, v3
	v_sub_f32_e32 v19, v24, v19
	v_pk_mul_f32 v[26:27], v[2:3], v[18:19]
	v_fma_f32 v24, v18, v2, -v26
	v_pk_add_f32 v[28:29], v[2:3], v[18:19]
	v_fmac_f32_e32 v24, v18, v23
	v_mov_b32_e32 v27, v29
	v_fmac_f32_e32 v24, v30, v2
	v_pk_add_f32 v[18:19], v[26:27], v[24:25]
	v_sub_f32_e32 v3, v18, v26
	v_sub_f32_e32 v3, v24, v3
	;; [unrolled: 1-line block ×3, first 2 shown]
	v_add_f32_e32 v27, v29, v24
	v_mov_b32_e32 v24, v19
	v_pk_mul_f32 v[24:25], v[18:19], v[24:25]
	v_fma_f32 v26, v18, v19, -v24
	v_fmac_f32_e32 v26, v18, v27
	v_fmac_f32_e32 v26, v3, v19
	v_cvt_f64_f32_e32 v[18:19], v49
	v_frexp_exp_i32_f64_e32 v3, v[18:19]
	v_subbrev_co_u32_e64 v3, s[90:91], 0, v3, s[90:91]
	v_cvt_f32_i32_e32 v3, v3
	v_ldexp_f32 v29, v2, 1
	v_add_f32_e32 v19, v24, v26
	v_mov_b32_e32 v30, v19
	v_mul_f32_e32 v18, 0x3f317218, v3
	v_fma_f32 v28, v3, s24, -v18
	v_fmac_f32_e32 v28, 0xb102e308, v3
	v_pk_add_f32 v[2:3], v[18:19], v[28:29]
	v_mov_b32_e32 v31, v3
	v_mov_b32_e32 v25, v29
	v_pk_add_f32 v[24:25], v[30:31], v[24:25] neg_lo:[0,1] neg_hi:[0,1]
	v_mov_b32_e32 v27, v19
	v_ldexp_f32 v23, v23, 1
	v_pk_add_f32 v[24:25], v[26:27], v[24:25] neg_lo:[0,1] neg_hi:[0,1]
	v_add_f32_e32 v19, v23, v24
	v_add_f32_e32 v19, v19, v25
	v_pk_add_f32 v[24:25], v[2:3], v[18:19] neg_lo:[0,1] neg_hi:[0,1]
	v_pk_add_f32 v[26:27], v[2:3], v[18:19]
	v_mov_b32_e32 v30, v24
	v_mov_b32_e32 v31, v27
	;; [unrolled: 1-line block ×3, first 2 shown]
	v_pk_add_f32 v[30:31], v[28:29], v[30:31]
	v_mov_b32_e32 v18, v31
	v_pk_add_f32 v[32:33], v[18:19], v[2:3] neg_lo:[0,1] neg_hi:[0,1]
	v_mov_b32_e32 v23, v32
	v_mov_b32_e32 v30, v27
	;; [unrolled: 1-line block ×4, first 2 shown]
	v_pk_add_f32 v[24:25], v[28:29], v[24:25] neg_lo:[0,1] neg_hi:[0,1]
	v_pk_add_f32 v[44:45], v[26:27], v[22:23] neg_lo:[0,1] neg_hi:[0,1]
	;; [unrolled: 1-line block ×3, first 2 shown]
	v_mov_b32_e32 v28, v19
	v_pk_add_f32 v[2:3], v[28:29], v[2:3] neg_lo:[0,1] neg_hi:[0,1]
	v_mov_b32_e32 v44, v24
	v_pk_add_f32 v[26:27], v[44:45], v[2:3]
	v_mov_b32_e32 v28, v27
	v_pk_add_f32 v[28:29], v[26:27], v[28:29]
	v_pk_add_f32 v[18:19], v[18:19], v[28:29]
	v_mov_b32_e32 v25, v31
	v_mov_b32_e32 v27, v18
	v_pk_add_f32 v[30:31], v[26:27], v[24:25] neg_lo:[0,1] neg_hi:[0,1]
	v_mov_b32_e32 v3, v28
	v_sub_f32_e32 v19, v26, v30
	v_pk_add_f32 v[2:3], v[2:3], v[30:31] neg_lo:[0,1] neg_hi:[0,1]
	v_sub_f32_e32 v19, v24, v19
	v_add_f32_e32 v2, v2, v19
	v_add_f32_e32 v2, v2, v3
	;; [unrolled: 1-line block ×3, first 2 shown]
	v_sub_f32_e32 v18, v3, v18
	v_sub_f32_e32 v2, v2, v18
	v_mul_f32_e32 v18, v1, v3
	v_fma_f32 v3, v1, v3, -v18
	v_fmac_f32_e32 v3, v1, v2
	v_add_f32_e32 v2, v18, v3
	v_cmp_class_f32_e64 s[90:91], v18, s25
	v_sub_f32_e32 v19, v2, v18
	v_cndmask_b32_e64 v2, v2, v18, s[90:91]
	v_sub_f32_e32 v3, v3, v19
	v_cmp_neq_f32_e64 s[90:91], |v2|, s6
	v_cndmask_b32_e64 v3, 0, v3, s[90:91]
	v_cmp_eq_f32_e64 s[90:91], s5, v2
	v_cndmask_b32_e64 v18, 0, v47, s[90:91]
	v_sub_f32_e32 v2, v2, v18
	v_add_f32_e32 v3, v18, v3
	v_mul_f32_e32 v18, 0x3fb8aa3b, v2
	v_fma_f32 v19, v2, s55, -v18
	v_rndne_f32_e32 v23, v18
	v_fmac_f32_e32 v19, 0x32a5705f, v2
	v_sub_f32_e32 v18, v18, v23
	v_add_f32_e32 v18, v18, v19
	v_exp_f32_e32 v18, v18
	v_cvt_i32_f32_e32 v19, v23
	v_cmp_ngt_f32_e64 s[90:91], s4, v2
	v_add_u32_e32 v22, -1, v22
	v_ldexp_f32 v18, v18, v19
	v_cndmask_b32_e64 v18, 0, v18, s[90:91]
	v_cmp_nlt_f32_e64 s[90:91], s5, v2
	v_cndmask_b32_e64 v2, v17, v18, s[90:91]
	v_fma_f32 v3, v2, v3, v2
	v_cmp_class_f32_e64 s[90:91], v2, s25
	v_trunc_f32_e32 v18, v1
	v_cndmask_b32_e64 v2, v3, v2, s[90:91]
	v_cndmask_b32_e64 v3, v52, 1.0, vcc
	v_cmp_eq_f32_e32 vcc, v18, v1
	v_mul_f32_e32 v18, 0.5, v1
	v_trunc_f32_e32 v19, v18
	v_cmp_neq_f32_e64 s[90:91], v19, v18
	s_and_b64 s[90:91], vcc, s[90:91]
	v_cndmask_b32_e64 v18, 1.0, v3, s[90:91]
	v_bfi_b32 v2, s26, v2, v18
	v_cmp_gt_f32_e64 s[92:93], 0, v3
	v_cndmask_b32_e32 v18, v50, v2, vcc
	v_cndmask_b32_e64 v2, v2, v18, s[92:93]
	v_cmp_eq_f32_e64 s[92:93], 0, v3
	s_xor_b64 s[8:9], s[94:95], s[92:93]
	v_cmp_eq_f32_e32 vcc, s6, v49
	v_cndmask_b32_e64 v1, v17, 0, s[8:9]
	v_cndmask_b32_e64 v18, 0, v3, s[90:91]
	s_or_b64 vcc, vcc, s[92:93]
	v_bfi_b32 v1, s26, v1, v18
	v_cndmask_b32_e32 v1, v2, v1, vcc
	v_cmp_o_f32_e32 vcc, v3, v3
	v_cndmask_b32_e32 v1, v50, v1, vcc
	v_mul_f32_e32 v2, v1, v39
	v_add_u32_e32 v1, s48, v53
	v_mul_lo_u32 v1, v1, 28
	v_add3_u32 v1, v4, v1, v41
	buffer_load_dword v3, v1, s[0:3], 0 offen
	s_add_i32 s8, s48, 1
	v_cmp_eq_u32_e32 vcc, s48, v60
	s_or_b64 s[34:35], vcc, s[34:35]
	s_mov_b32 s48, s8
	s_waitcnt vmcnt(0)
	v_fmac_f32_e32 v15, v3, v2
	s_andn2_b64 exec, exec, s[34:35]
	s_cbranch_execz .LBB0_229
.LBB0_193:                              ;   Parent Loop BB0_88 Depth=1
                                        ;     Parent Loop BB0_188 Depth=2
                                        ; =>    This Loop Header: Depth=3
                                        ;         Child Loop BB0_196 Depth 4
                                        ;         Child Loop BB0_200 Depth 4
	;; [unrolled: 1-line block ×6, first 2 shown]
	v_mov_b32_e32 v39, 1
	s_and_saveexec_b64 s[90:91], s[38:39]
	s_cbranch_execz .LBB0_203
; %bb.194:                              ;   in Loop: Header=BB0_193 Depth=3
	s_mov_b64 s[8:9], -1
	v_mov_b32_e32 v39, 1
	v_mov_b32_e32 v1, 2
	s_and_saveexec_b64 s[92:93], s[74:75]
	s_cbranch_execz .LBB0_198
; %bb.195:                              ;   in Loop: Header=BB0_193 Depth=3
	s_mov_b32 s94, 1
	s_mov_b32 s8, 3
	;; [unrolled: 1-line block ×3, first 2 shown]
	s_mov_b64 s[50:51], 0
	v_accvgpr_read_b32 v1, a45
	s_mov_b32 s95, s94
.LBB0_196:                              ;   Parent Loop BB0_88 Depth=1
                                        ;     Parent Loop BB0_188 Depth=2
                                        ;       Parent Loop BB0_193 Depth=3
                                        ; =>      This Inner Loop Header: Depth=4
	v_add_u32_e32 v1, -2, v1
	s_mul_i32 s95, s95, s8
	s_mul_i32 s94, s94, s9
	s_add_i32 s9, s9, 2
	s_add_i32 s8, s8, 2
	v_cmp_eq_u32_e32 vcc, 0, v1
	s_or_b64 s[50:51], vcc, s[50:51]
	v_pk_mov_b32 v[2:3], s[94:95], s[94:95] op_sel:[0,1]
	s_andn2_b64 exec, exec, s[50:51]
	s_cbranch_execnz .LBB0_196
; %bb.197:                              ;   in Loop: Header=BB0_193 Depth=3
	s_or_b64 exec, exec, s[50:51]
	v_mul_lo_u32 v39, v2, v3
	s_orn2_b64 s[8:9], s[76:77], exec
	v_mov_b32_e32 v1, v12
.LBB0_198:                              ;   in Loop: Header=BB0_193 Depth=3
	s_or_b64 exec, exec, s[92:93]
	s_and_saveexec_b64 s[50:51], s[8:9]
	s_cbranch_execz .LBB0_202
; %bb.199:                              ;   in Loop: Header=BB0_193 Depth=3
	s_mov_b64 s[8:9], 0
.LBB0_200:                              ;   Parent Loop BB0_88 Depth=1
                                        ;     Parent Loop BB0_188 Depth=2
                                        ;       Parent Loop BB0_193 Depth=3
                                        ; =>      This Inner Loop Header: Depth=4
	v_mul_lo_u32 v39, v39, v1
	v_add_u32_e32 v1, 1, v1
	v_cmp_eq_u32_e32 vcc, v55, v1
	s_or_b64 s[8:9], vcc, s[8:9]
	s_andn2_b64 exec, exec, s[8:9]
	s_cbranch_execnz .LBB0_200
; %bb.201:                              ;   in Loop: Header=BB0_193 Depth=3
	s_or_b64 exec, exec, s[8:9]
.LBB0_202:                              ;   in Loop: Header=BB0_193 Depth=3
	s_or_b64 exec, exec, s[50:51]
.LBB0_203:                              ;   in Loop: Header=BB0_193 Depth=3
	s_or_b64 exec, exec, s[90:91]
	s_cmp_lt_u32 s48, 2
	s_mov_b32 s49, 1
	s_cbranch_scc1 .LBB0_211
; %bb.204:                              ;   in Loop: Header=BB0_193 Depth=3
	s_cmp_eq_u32 s48, 2
	s_mov_b32 s50, 2
	s_cbranch_scc1 .LBB0_208
; %bb.205:                              ;   in Loop: Header=BB0_193 Depth=3
	s_and_b32 s9, s47, -2
	s_mov_b32 s8, 1
	s_mov_b32 vcc_lo, 3
	s_mov_b32 vcc_hi, 2
.LBB0_206:                              ;   Parent Loop BB0_88 Depth=1
                                        ;     Parent Loop BB0_188 Depth=2
                                        ;       Parent Loop BB0_193 Depth=3
                                        ; =>      This Inner Loop Header: Depth=4
	s_mul_i32 s49, s49, vcc_lo
	s_mul_i32 s8, s8, vcc_hi
	s_add_i32 vcc_hi, vcc_hi, 2
	s_add_i32 vcc_lo, vcc_lo, 2
	s_add_i32 s9, s9, -2
	s_cmp_lg_u32 s9, 0
	s_cbranch_scc1 .LBB0_206
; %bb.207:                              ;   in Loop: Header=BB0_193 Depth=3
	s_add_i32 s9, s48, -1
	s_and_b32 vcc_lo, s9, -2
	s_add_i32 s50, vcc_lo, 2
	s_cmp_lg_u32 s9, vcc_lo
	s_mul_i32 s49, s8, s49
	s_cselect_b64 s[8:9], -1, 0
	s_and_b64 vcc, exec, s[8:9]
	s_cbranch_vccnz .LBB0_209
	s_branch .LBB0_211
.LBB0_208:                              ;   in Loop: Header=BB0_193 Depth=3
	s_cbranch_execz .LBB0_211
.LBB0_209:                              ;   in Loop: Header=BB0_193 Depth=3
	s_add_i32 s8, s48, 1
.LBB0_210:                              ;   Parent Loop BB0_88 Depth=1
                                        ;     Parent Loop BB0_188 Depth=2
                                        ;       Parent Loop BB0_193 Depth=3
                                        ; =>      This Inner Loop Header: Depth=4
	s_mul_i32 s49, s49, s50
	s_add_i32 s50, s50, 1
	s_cmp_lg_u32 s8, s50
	s_cbranch_scc1 .LBB0_210
.LBB0_211:                              ;   in Loop: Header=BB0_193 Depth=3
	v_subrev_u32_e32 v1, s48, v60
	v_cmp_lt_i32_e32 vcc, 1, v1
	v_mov_b32_e32 v2, 1
	s_and_saveexec_b64 s[90:91], vcc
	s_cbranch_execz .LBB0_192
; %bb.212:                              ;   in Loop: Header=BB0_193 Depth=3
	v_subrev_u32_e32 v49, s48, v59
	s_mov_b32 s94, 1
	v_cmp_lt_u32_e32 vcc, 1, v49
	s_mov_b64 s[8:9], -1
	v_mov_b32_e32 v2, 1
	v_mov_b32_e32 v19, 2
	s_and_saveexec_b64 s[92:93], vcc
	s_cbranch_execz .LBB0_216
; %bb.213:                              ;   in Loop: Header=BB0_193 Depth=3
	v_and_b32_e32 v19, -2, v22
	s_mov_b32 s8, 3
	s_mov_b32 s9, 2
	s_mov_b64 s[50:51], 0
	s_mov_b32 s95, s94
.LBB0_214:                              ;   Parent Loop BB0_88 Depth=1
                                        ;     Parent Loop BB0_188 Depth=2
                                        ;       Parent Loop BB0_193 Depth=3
                                        ; =>      This Inner Loop Header: Depth=4
	v_add_u32_e32 v19, -2, v19
	s_mul_i32 s95, s95, s8
	s_mul_i32 s94, s94, s9
	s_add_i32 s9, s9, 2
	s_add_i32 s8, s8, 2
	v_cmp_eq_u32_e32 vcc, 0, v19
	s_or_b64 s[50:51], vcc, s[50:51]
	v_pk_mov_b32 v[2:3], s[94:95], s[94:95] op_sel:[0,1]
	s_andn2_b64 exec, exec, s[50:51]
	s_cbranch_execnz .LBB0_214
; %bb.215:                              ;   in Loop: Header=BB0_193 Depth=3
	s_or_b64 exec, exec, s[50:51]
	v_and_b32_e32 v18, -2, v49
	v_cmp_ne_u32_e32 vcc, v49, v18
	v_add_u32_e32 v19, 2, v18
	v_mul_lo_u32 v2, v2, v3
	s_orn2_b64 s[8:9], vcc, exec
.LBB0_216:                              ;   in Loop: Header=BB0_193 Depth=3
	s_or_b64 exec, exec, s[92:93]
	s_and_saveexec_b64 s[50:51], s[8:9]
	s_cbranch_execz .LBB0_191
; %bb.217:                              ;   in Loop: Header=BB0_193 Depth=3
	s_mov_b64 s[8:9], 0
.LBB0_218:                              ;   Parent Loop BB0_88 Depth=1
                                        ;     Parent Loop BB0_188 Depth=2
                                        ;       Parent Loop BB0_193 Depth=3
                                        ; =>      This Inner Loop Header: Depth=4
	v_mul_lo_u32 v2, v2, v19
	v_add_u32_e32 v19, 1, v19
	v_cmp_eq_u32_e32 vcc, v14, v19
	s_or_b64 s[8:9], vcc, s[8:9]
	s_andn2_b64 exec, exec, s[8:9]
	s_cbranch_execnz .LBB0_218
	s_branch .LBB0_190
.LBB0_219:                              ;   in Loop: Header=BB0_188 Depth=2
	s_or_b64 exec, exec, s[96:97]
	v_mov_b32_e32 v14, 1
	s_and_saveexec_b64 s[34:35], s[42:43]
	s_cbranch_execz .LBB0_230
.LBB0_220:                              ;   in Loop: Header=BB0_188 Depth=2
	s_mov_b64 s[8:9], -1
	v_mov_b32_e32 v14, 1
	v_mov_b32_e32 v1, 2
	s_and_saveexec_b64 s[90:91], s[78:79]
	s_cbranch_execz .LBB0_224
; %bb.221:                              ;   in Loop: Header=BB0_188 Depth=2
	s_mov_b32 s92, 1
	s_mov_b32 s8, 3
	;; [unrolled: 1-line block ×3, first 2 shown]
	s_mov_b64 s[50:51], 0
	v_accvgpr_read_b32 v1, a46
	s_mov_b32 s93, s92
.LBB0_222:                              ;   Parent Loop BB0_88 Depth=1
                                        ;     Parent Loop BB0_188 Depth=2
                                        ; =>    This Inner Loop Header: Depth=3
	v_add_u32_e32 v1, -2, v1
	s_mul_i32 s93, s93, s8
	s_mul_i32 s92, s92, s9
	s_add_i32 s9, s9, 2
	s_add_i32 s8, s8, 2
	v_cmp_eq_u32_e32 vcc, 0, v1
	s_or_b64 s[50:51], vcc, s[50:51]
	v_pk_mov_b32 v[2:3], s[92:93], s[92:93] op_sel:[0,1]
	s_andn2_b64 exec, exec, s[50:51]
	s_cbranch_execnz .LBB0_222
; %bb.223:                              ;   in Loop: Header=BB0_188 Depth=2
	s_or_b64 exec, exec, s[50:51]
	v_mul_lo_u32 v14, v2, v3
	s_orn2_b64 s[8:9], s[80:81], exec
	v_accvgpr_read_b32 v1, a52
.LBB0_224:                              ;   in Loop: Header=BB0_188 Depth=2
	s_or_b64 exec, exec, s[90:91]
	s_and_saveexec_b64 s[50:51], s[8:9]
	s_cbranch_execz .LBB0_228
; %bb.225:                              ;   in Loop: Header=BB0_188 Depth=2
	s_mov_b64 s[8:9], 0
.LBB0_226:                              ;   Parent Loop BB0_88 Depth=1
                                        ;     Parent Loop BB0_188 Depth=2
                                        ; =>    This Inner Loop Header: Depth=3
	v_mul_lo_u32 v14, v14, v1
	v_add_u32_e32 v1, 1, v1
	v_cmp_eq_u32_e32 vcc, v8, v1
	s_or_b64 s[8:9], vcc, s[8:9]
	s_andn2_b64 exec, exec, s[8:9]
	s_cbranch_execnz .LBB0_226
; %bb.227:                              ;   in Loop: Header=BB0_188 Depth=2
	s_or_b64 exec, exec, s[8:9]
.LBB0_228:                              ;   in Loop: Header=BB0_188 Depth=2
	s_or_b64 exec, exec, s[50:51]
	s_or_b64 exec, exec, s[34:35]
	s_cmp_lt_u32 s46, 2
	s_mov_b32 s47, 1
	s_cbranch_scc1 .LBB0_238
	s_branch .LBB0_231
.LBB0_229:                              ;   in Loop: Header=BB0_188 Depth=2
	s_or_b64 exec, exec, s[34:35]
	s_or_b64 exec, exec, s[96:97]
	v_mov_b32_e32 v14, 1
	s_and_saveexec_b64 s[34:35], s[42:43]
	s_cbranch_execnz .LBB0_220
.LBB0_230:                              ;   in Loop: Header=BB0_188 Depth=2
	s_or_b64 exec, exec, s[34:35]
	s_cmp_lt_u32 s46, 2
	s_mov_b32 s47, 1
	s_cbranch_scc1 .LBB0_238
.LBB0_231:                              ;   in Loop: Header=BB0_188 Depth=2
	s_cmp_eq_u32 s46, 2
	s_mov_b32 s34, 2
	s_cbranch_scc1 .LBB0_235
; %bb.232:                              ;   in Loop: Header=BB0_188 Depth=2
	s_and_b32 s9, s27, -2
	s_mov_b32 s8, 1
	s_mov_b32 vcc_lo, 3
	s_mov_b32 vcc_hi, 2
	s_mov_b32 s35, 1
.LBB0_233:                              ;   Parent Loop BB0_88 Depth=1
                                        ;     Parent Loop BB0_188 Depth=2
                                        ; =>    This Inner Loop Header: Depth=3
	s_mul_i32 s35, s35, vcc_lo
	s_mul_i32 s8, s8, vcc_hi
	s_add_i32 vcc_hi, vcc_hi, 2
	s_add_i32 vcc_lo, vcc_lo, 2
	s_add_i32 s9, s9, -2
	s_cmp_lg_u32 s9, 0
	s_cbranch_scc1 .LBB0_233
; %bb.234:                              ;   in Loop: Header=BB0_188 Depth=2
	s_add_i32 s9, s46, -1
	s_and_b32 vcc_lo, s9, -2
	s_add_i32 s34, vcc_lo, 2
	s_cmp_lg_u32 s9, vcc_lo
	s_mul_i32 s47, s8, s35
	s_cselect_b64 s[8:9], -1, 0
	s_and_b64 vcc, exec, s[8:9]
	s_cbranch_vccnz .LBB0_236
	s_branch .LBB0_238
.LBB0_235:                              ;   in Loop: Header=BB0_188 Depth=2
	s_cbranch_execz .LBB0_238
.LBB0_236:                              ;   in Loop: Header=BB0_188 Depth=2
	s_add_i32 s8, s46, 1
.LBB0_237:                              ;   Parent Loop BB0_88 Depth=1
                                        ;     Parent Loop BB0_188 Depth=2
                                        ; =>    This Inner Loop Header: Depth=3
	s_mul_i32 s47, s47, s34
	s_add_i32 s34, s34, 1
	s_cmp_lg_u32 s8, s34
	s_cbranch_scc1 .LBB0_237
.LBB0_238:                              ;   in Loop: Header=BB0_188 Depth=2
	v_accvgpr_read_b32 v1, a12
	v_subrev_u32_e32 v1, s46, v1
	v_cmp_lt_i32_e32 vcc, 1, v1
	v_mov_b32_e32 v2, 1
	s_and_saveexec_b64 s[34:35], vcc
	s_cbranch_execz .LBB0_187
; %bb.239:                              ;   in Loop: Header=BB0_188 Depth=2
	v_accvgpr_read_b32 v2, a41
	v_subrev_u32_e32 v22, s46, v2
	s_mov_b32 s92, 1
	v_cmp_lt_u32_e32 vcc, 1, v22
	s_mov_b64 s[8:9], -1
	v_mov_b32_e32 v2, 1
	v_mov_b32_e32 v39, 2
	s_and_saveexec_b64 s[90:91], vcc
	s_cbranch_execz .LBB0_243
; %bb.240:                              ;   in Loop: Header=BB0_188 Depth=2
	v_and_b32_e32 v19, -2, v9
	s_mov_b32 s8, 3
	s_mov_b32 s9, 2
	s_mov_b64 s[50:51], 0
	s_mov_b32 s93, s92
.LBB0_241:                              ;   Parent Loop BB0_88 Depth=1
                                        ;     Parent Loop BB0_188 Depth=2
                                        ; =>    This Inner Loop Header: Depth=3
	v_add_u32_e32 v19, -2, v19
	s_mul_i32 s93, s93, s8
	s_mul_i32 s92, s92, s9
	s_add_i32 s9, s9, 2
	s_add_i32 s8, s8, 2
	v_cmp_eq_u32_e32 vcc, 0, v19
	s_or_b64 s[50:51], vcc, s[50:51]
	v_pk_mov_b32 v[2:3], s[92:93], s[92:93] op_sel:[0,1]
	s_andn2_b64 exec, exec, s[50:51]
	s_cbranch_execnz .LBB0_241
; %bb.242:                              ;   in Loop: Header=BB0_188 Depth=2
	s_or_b64 exec, exec, s[50:51]
	v_and_b32_e32 v18, -2, v22
	v_cmp_ne_u32_e32 vcc, v22, v18
	v_add_u32_e32 v39, 2, v18
	v_mul_lo_u32 v2, v2, v3
	s_orn2_b64 s[8:9], vcc, exec
.LBB0_243:                              ;   in Loop: Header=BB0_188 Depth=2
	s_or_b64 exec, exec, s[90:91]
	s_and_saveexec_b64 s[50:51], s[8:9]
	s_cbranch_execz .LBB0_186
; %bb.244:                              ;   in Loop: Header=BB0_188 Depth=2
	s_mov_b64 s[8:9], 0
.LBB0_245:                              ;   Parent Loop BB0_88 Depth=1
                                        ;     Parent Loop BB0_188 Depth=2
                                        ; =>    This Inner Loop Header: Depth=3
	v_mul_lo_u32 v2, v2, v39
	v_add_u32_e32 v39, 1, v39
	v_cmp_eq_u32_e32 vcc, v13, v39
	s_or_b64 s[8:9], vcc, s[8:9]
	s_andn2_b64 exec, exec, s[8:9]
	s_cbranch_execnz .LBB0_245
; %bb.246:                              ;   in Loop: Header=BB0_188 Depth=2
	s_or_b64 exec, exec, s[8:9]
	s_branch .LBB0_186
.LBB0_247:                              ;   in Loop: Header=BB0_88 Depth=1
	s_or_b64 exec, exec, s[28:29]
.LBB0_248:                              ;   in Loop: Header=BB0_88 Depth=1
	s_or_b64 exec, exec, s[12:13]
	v_accvgpr_read_b32 v1, a35
	v_mul_f32_e32 v1, v1, v35
	v_cvt_f64_f32_e32 v[2:3], v1
	v_accvgpr_read_b32 v1, a36
	v_mul_f32_e32 v1, v1, v43
	v_cvt_f64_f32_e32 v[14:15], v1
	v_fmac_f64_e32 v[2:3], 2.0, v[14:15]
	v_cvt_f32_f64_e32 v1, v[2:3]
	buffer_store_dword a39, off, s[0:3], s32 offset:192
	s_mov_b64 s[8:9], exec
	v_readlane_b32 s12, v61, 24
	v_readlane_b32 s13, v61, 25
	s_and_b64 s[12:13], s[8:9], s[12:13]
	s_mov_b64 exec, s[12:13]
	s_cbranch_execz .LBB0_250
; %bb.249:                              ;   in Loop: Header=BB0_88 Depth=1
	v_accvgpr_read_b32 v2, a39
	v_mul_f32_e32 v2, v2, v1
	buffer_store_dword v2, off, s[0:3], s32 offset:220
.LBB0_250:                              ;   in Loop: Header=BB0_88 Depth=1
	s_or_b64 exec, exec, s[8:9]
	v_accvgpr_read_b32 v2, a37
	v_accvgpr_read_b32 v9, a38
	v_mul_f32_e32 v2, v2, v35
	v_mul_f32_e32 v9, v9, v43
	v_cvt_f64_f32_e32 v[2:3], v2
	v_cvt_f64_f32_e32 v[14:15], v9
	v_fmac_f64_e32 v[2:3], 2.0, v[14:15]
	v_cvt_f32_f64_e32 v2, v[2:3]
	s_mov_b64 s[8:9], exec
	v_readlane_b32 s12, v61, 26
	v_readlane_b32 s13, v61, 27
	s_and_b64 s[12:13], s[8:9], s[12:13]
	s_mov_b64 exec, s[12:13]
	s_cbranch_execz .LBB0_252
; %bb.251:                              ;   in Loop: Header=BB0_88 Depth=1
	v_accvgpr_read_b32 v3, a39
	v_mul_f32_e32 v3, v3, v2
	buffer_store_dword v3, off, s[0:3], s32 offset:196
.LBB0_252:                              ;   in Loop: Header=BB0_88 Depth=1
	s_or_b64 exec, exec, s[8:9]
	s_mov_b64 s[12:13], exec
	v_readlane_b32 s8, v61, 22
	v_readlane_b32 s9, v61, 23
	s_and_b64 s[8:9], s[12:13], s[8:9]
	v_accvgpr_read_b32 v15, a33
	s_mov_b64 exec, s[8:9]
	s_cbranch_execz .LBB0_255
; %bb.253:                              ;   in Loop: Header=BB0_88 Depth=1
	buffer_load_dword v9, off, s[0:3], s32 offset:220
	v_lshrrev_b32_e64 v3, 6, s32
	v_add_u32_e32 v3, 0xc0, v3
	s_mov_b32 s8, 1
	s_mov_b64 s[28:29], 0
.LBB0_254:                              ;   Parent Loop BB0_88 Depth=1
                                        ; =>  This Inner Loop Header: Depth=2
	buffer_load_dword v13, v3, s[0:3], 0 offen
	v_cvt_f32_i32_e32 v14, s8
	s_add_i32 s8, s8, 1
	v_cmp_eq_u32_e32 vcc, s8, v15
	s_or_b64 s[28:29], vcc, s[28:29]
	v_mul_f32_e32 v14, v36, v14
	s_waitcnt vmcnt(0)
	v_mul_f32_e32 v13, v13, v14
	v_fmac_f32_e32 v13, v9, v1
	buffer_store_dword v13, v3, s[0:3], 0 offen offset:56
	v_add_u32_e32 v3, 28, v3
	v_mov_b32_e32 v9, v13
	s_andn2_b64 exec, exec, s[28:29]
	s_cbranch_execnz .LBB0_254
.LBB0_255:                              ;   in Loop: Header=BB0_88 Depth=1
	s_or_b64 exec, exec, s[12:13]
	s_and_saveexec_b64 s[12:13], s[52:53]
	s_cbranch_execz .LBB0_258
; %bb.256:                              ;   in Loop: Header=BB0_88 Depth=1
	buffer_load_dword v9, off, s[0:3], s32 offset:196
	s_mov_b32 s8, 1
	s_mov_b64 s[28:29], 0
	v_accvgpr_read_b32 v1, a55
	v_accvgpr_read_b32 v3, a39
	s_waitcnt vmcnt(0)
.LBB0_257:                              ;   Parent Loop BB0_88 Depth=1
                                        ; =>  This Inner Loop Header: Depth=2
	v_mov_b32_e32 v13, v9
	v_cvt_f32_i32_e32 v9, s8
	s_add_i32 s8, s8, 1
	v_cmp_eq_u32_e32 vcc, s8, v57
	s_or_b64 s[28:29], vcc, s[28:29]
	v_mul_f32_e32 v9, v48, v9
	v_mul_f32_e32 v9, v3, v9
	v_fmac_f32_e32 v9, v13, v2
	v_mov_b32_e32 v3, v13
	buffer_store_dword v9, v1, s[0:3], 0 offen
	v_add_u32_e32 v1, 4, v1
	s_andn2_b64 exec, exec, s[28:29]
	s_cbranch_execnz .LBB0_257
.LBB0_258:                              ;   in Loop: Header=BB0_88 Depth=1
	s_or_b64 exec, exec, s[12:13]
	s_mov_b64 s[12:13], exec
	v_readlane_b32 s8, v61, 28
	v_readlane_b32 s9, v61, 29
	s_and_b64 s[8:9], s[12:13], s[8:9]
	s_mov_b64 exec, s[8:9]
	s_cbranch_execz .LBB0_264
; %bb.259:                              ;   in Loop: Header=BB0_88 Depth=1
	s_mov_b32 s8, 1
	s_mov_b64 s[28:29], 0
	v_accvgpr_read_b32 v1, a49
	s_branch .LBB0_261
.LBB0_260:                              ;   in Loop: Header=BB0_261 Depth=2
	s_or_b64 exec, exec, s[34:35]
	v_accvgpr_read_b32 v3, a33
	s_add_i32 s9, s8, 1
	v_cmp_eq_u32_e32 vcc, s8, v3
	v_add_u32_e32 v1, 28, v1
	s_or_b64 s[28:29], vcc, s[28:29]
	s_mov_b32 s8, s9
	s_andn2_b64 exec, exec, s[28:29]
	s_cbranch_execz .LBB0_264
.LBB0_261:                              ;   Parent Loop BB0_88 Depth=1
                                        ; =>  This Loop Header: Depth=2
                                        ;       Child Loop BB0_263 Depth 3
	s_mul_i32 s9, s8, 28
	v_add_u32_e32 v13, s9, v4
	v_subrev_u32_e32 v3, 28, v13
	buffer_load_dword v14, v13, s[0:3], 0 offen
	buffer_load_dword v15, v3, s[0:3], 0 offen
	v_cvt_f32_u32_e32 v3, s8
	v_mul_f32_e32 v3, v43, v3
	s_waitcnt vmcnt(1)
	v_mul_f32_e32 v9, v14, v2
	s_waitcnt vmcnt(0)
	v_fmac_f32_e32 v9, v15, v3
	buffer_store_dword v9, v13, s[0:3], 0 offen offset:4
	s_and_saveexec_b64 s[34:35], s[52:53]
	s_cbranch_execz .LBB0_260
; %bb.262:                              ;   in Loop: Header=BB0_261 Depth=2
	s_mov_b32 s9, 1
	s_mov_b64 s[90:91], 0
	v_mov_b32_e32 v13, v1
.LBB0_263:                              ;   Parent Loop BB0_88 Depth=1
                                        ;     Parent Loop BB0_261 Depth=2
                                        ; =>    This Inner Loop Header: Depth=3
	v_mov_b32_e32 v15, v9
	v_cvt_f32_i32_e32 v9, s9
	s_add_i32 s9, s9, 1
	v_cmp_eq_u32_e32 vcc, s9, v57
	s_or_b64 s[90:91], vcc, s[90:91]
	v_mul_f32_e32 v9, v48, v9
	v_mul_f32_e32 v9, v14, v9
	buffer_load_dword v14, v13, s[0:3], 0 offen
	s_waitcnt vmcnt(0)
	v_fmac_f32_e32 v9, v3, v14
	v_fmac_f32_e32 v9, v15, v2
	buffer_store_dword v9, v13, s[0:3], 0 offen offset:32
	v_add_u32_e32 v13, 4, v13
	v_mov_b32_e32 v14, v15
	s_andn2_b64 exec, exec, s[90:91]
	s_cbranch_execnz .LBB0_263
	s_branch .LBB0_260
.LBB0_264:                              ;   in Loop: Header=BB0_88 Depth=1
	s_or_b64 exec, exec, s[12:13]
	v_mov_b32_e32 v35, 0
	s_mov_b64 s[12:13], exec
	v_readlane_b32 s8, v61, 30
	v_readlane_b32 s9, v61, 31
	s_and_b64 s[8:9], s[12:13], s[8:9]
	v_accvgpr_read_b32 v49, a10
	v_accvgpr_read_b32 v43, a13
	s_mov_b64 exec, s[8:9]
	s_cbranch_execz .LBB0_87
; %bb.265:                              ;   in Loop: Header=BB0_88 Depth=1
	s_mov_b32 s46, 0
	s_mov_b32 s27, -1
	s_mov_b64 s[28:29], 0
	v_mov_b32_e32 v35, 0
	v_mov_b32_e32 v9, v6
	v_accvgpr_read_b32 v13, a40
	s_branch .LBB0_268
.LBB0_266:                              ;   in Loop: Header=BB0_268 Depth=2
	s_or_b64 exec, exec, s[50:51]
.LBB0_267:                              ;   in Loop: Header=BB0_268 Depth=2
	s_or_b64 exec, exec, s[34:35]
	v_mul_lo_u32 v2, v2, s47
	v_sub_u32_e32 v3, 0, v2
	v_max_i32_e32 v3, v2, v3
	v_cvt_f32_u32_e32 v18, v3
	v_sub_u32_e32 v19, 0, v14
	v_xor_b32_e32 v2, v14, v2
	v_max_i32_e32 v14, v14, v19
	v_rcp_iflag_f32_e32 v18, v18
	v_sub_u32_e32 v19, 0, v3
	v_ashrrev_i32_e32 v2, 31, v2
	v_accvgpr_read_b32 v36, a34
	v_mul_f32_e32 v18, 0x4f7ffffe, v18
	v_cvt_u32_f32_e32 v18, v18
	s_add_i32 s27, s27, 1
	v_add_u32_e32 v13, -1, v13
	v_add_u32_e32 v9, -1, v9
	v_mul_lo_u32 v19, v19, v18
	v_mul_hi_u32 v19, v18, v19
	v_add_u32_e32 v18, v18, v19
	v_mul_hi_u32 v18, v14, v18
	v_mul_lo_u32 v19, v18, v3
	v_sub_u32_e32 v14, v14, v19
	v_cmp_ge_u32_e32 vcc, v14, v3
	v_sub_u32_e32 v19, v14, v3
	v_add_u32_e32 v22, 1, v18
	v_cndmask_b32_e32 v14, v14, v19, vcc
	v_cndmask_b32_e32 v18, v18, v22, vcc
	v_cmp_ge_u32_e32 vcc, v14, v3
	v_cvt_f32_i32_e32 v14, v1
	v_add_u32_e32 v19, 1, v18
	v_cndmask_b32_e32 v3, v18, v19, vcc
	v_xor_b32_e32 v1, v3, v2
	v_cndmask_b32_e64 v14, v14, 1.0, s[64:65]
	v_cmp_eq_f32_e32 vcc, 0, v14
	v_cndmask_b32_e64 v22, |v36|, 1.0, vcc
	v_sub_u32_e32 v1, v1, v2
	v_frexp_mant_f32_e32 v2, v22
	v_cmp_gt_f32_e64 s[90:91], s7, v2
	v_cndmask_b32_e64 v3, 1.0, 2.0, s[90:91]
	v_mul_f32_e32 v2, v2, v3
	v_add_f32_e32 v19, 1.0, v2
	v_rcp_f32_e32 v23, v19
	v_add_f32_e32 v3, -1.0, v19
	v_sub_f32_e32 v25, v2, v3
	v_add_f32_e32 v3, -1.0, v2
	s_waitcnt vmcnt(3)
	v_mul_f32_e32 v28, v3, v23
	v_mul_f32_e32 v18, v19, v28
	v_fma_f32 v24, v28, v19, -v18
	v_fmac_f32_e32 v24, v28, v25
	v_add_f32_e32 v2, v18, v24
	v_sub_f32_e32 v19, v3, v2
	v_pk_add_f32 v[26:27], v[2:3], v[18:19] neg_lo:[0,1] neg_hi:[0,1]
	v_mov_b32_e32 v25, v2
	v_pk_add_f32 v[2:3], v[26:27], v[24:25] neg_lo:[0,1] neg_hi:[0,1]
	v_add_f32_e32 v2, v2, v3
	v_add_f32_e32 v2, v19, v2
	v_mul_f32_e32 v3, v23, v2
	v_add_f32_e32 v2, v28, v3
	v_sub_f32_e32 v18, v2, v28
	v_sub_f32_e32 v23, v3, v18
	v_mul_f32_e32 v3, v2, v2
	v_fma_f32 v19, v2, v2, -v3
	v_add_f32_e32 v18, v23, v23
	v_fmac_f32_e32 v19, v2, v18
	v_add_f32_e32 v18, v3, v19
	v_mov_b32_e32 v24, 0x3e91f4c4
	v_fmac_f32_e32 v24, 0x3e76c4e1, v18
	v_fma_f32 v24, v18, v24, v42
	v_sub_f32_e32 v3, v18, v3
	v_sub_f32_e32 v30, v19, v3
	v_mul_f32_e32 v3, v18, v24
	v_fma_f32 v19, v18, v24, -v3
	v_fmac_f32_e32 v19, v30, v24
	v_add_f32_e32 v24, v3, v19
	v_add_f32_e32 v25, 0x3f2aaaaa, v24
	v_sub_f32_e32 v3, v24, v3
	v_sub_f32_e32 v3, v19, v3
	v_add_f32_e32 v19, 0xbf2aaaaa, v25
	v_add_f32_e32 v3, 0x31739010, v3
	v_sub_f32_e32 v19, v24, v19
	v_pk_mul_f32 v[26:27], v[2:3], v[18:19]
	v_fma_f32 v24, v18, v2, -v26
	v_pk_add_f32 v[28:29], v[2:3], v[18:19]
	v_fmac_f32_e32 v24, v18, v23
	v_mov_b32_e32 v27, v29
	v_fmac_f32_e32 v24, v30, v2
	v_pk_add_f32 v[18:19], v[26:27], v[24:25]
	v_sub_f32_e32 v3, v18, v26
	v_sub_f32_e32 v3, v24, v3
	;; [unrolled: 1-line block ×3, first 2 shown]
	v_add_f32_e32 v28, v29, v24
	v_mov_b32_e32 v24, v19
	v_pk_mul_f32 v[24:25], v[18:19], v[24:25]
	v_cvt_f64_f32_e32 v[26:27], v22
	v_frexp_exp_i32_f64_e32 v25, v[26:27]
	v_subbrev_co_u32_e64 v25, s[90:91], 0, v25, s[90:91]
	v_cvt_f32_i32_e32 v25, v25
	v_fma_f32 v26, v18, v19, -v24
	v_fmac_f32_e32 v26, v18, v28
	v_fmac_f32_e32 v26, v3, v19
	v_mul_f32_e32 v18, 0x3f317218, v25
	v_fma_f32 v28, v25, s24, -v18
	v_fmac_f32_e32 v28, 0xb102e308, v25
	v_ldexp_f32 v29, v2, 1
	v_add_f32_e32 v19, v24, v26
	v_pk_add_f32 v[2:3], v[18:19], v[28:29]
	v_mov_b32_e32 v30, v19
	v_mov_b32_e32 v31, v3
	;; [unrolled: 1-line block ×3, first 2 shown]
	v_pk_add_f32 v[24:25], v[30:31], v[24:25] neg_lo:[0,1] neg_hi:[0,1]
	v_mov_b32_e32 v27, v19
	v_ldexp_f32 v23, v23, 1
	v_pk_add_f32 v[24:25], v[26:27], v[24:25] neg_lo:[0,1] neg_hi:[0,1]
	v_add_f32_e32 v19, v23, v24
	v_add_f32_e32 v19, v19, v25
	v_pk_add_f32 v[24:25], v[2:3], v[18:19] neg_lo:[0,1] neg_hi:[0,1]
	v_pk_add_f32 v[26:27], v[2:3], v[18:19]
	v_mov_b32_e32 v30, v24
	v_mov_b32_e32 v31, v27
	;; [unrolled: 1-line block ×3, first 2 shown]
	v_pk_add_f32 v[30:31], v[28:29], v[30:31]
	v_mov_b32_e32 v18, v31
	v_pk_add_f32 v[32:33], v[18:19], v[2:3] neg_lo:[0,1] neg_hi:[0,1]
	v_mov_b32_e32 v23, v32
	v_mov_b32_e32 v30, v27
	;; [unrolled: 1-line block ×4, first 2 shown]
	v_pk_add_f32 v[24:25], v[28:29], v[24:25] neg_lo:[0,1] neg_hi:[0,1]
	v_pk_add_f32 v[38:39], v[26:27], v[22:23] neg_lo:[0,1] neg_hi:[0,1]
	v_pk_add_f32 v[2:3], v[30:31], v[2:3] neg_lo:[0,1] neg_hi:[0,1]
	v_mov_b32_e32 v28, v19
	v_pk_add_f32 v[2:3], v[28:29], v[2:3] neg_lo:[0,1] neg_hi:[0,1]
	v_mov_b32_e32 v38, v24
	v_pk_add_f32 v[26:27], v[38:39], v[2:3]
	v_mov_b32_e32 v28, v27
	v_pk_add_f32 v[28:29], v[26:27], v[28:29]
	v_pk_add_f32 v[18:19], v[18:19], v[28:29]
	v_mov_b32_e32 v25, v31
	v_mov_b32_e32 v27, v18
	v_pk_add_f32 v[30:31], v[26:27], v[24:25] neg_lo:[0,1] neg_hi:[0,1]
	v_mov_b32_e32 v3, v28
	v_sub_f32_e32 v19, v26, v30
	v_pk_add_f32 v[2:3], v[2:3], v[30:31] neg_lo:[0,1] neg_hi:[0,1]
	v_sub_f32_e32 v19, v24, v19
	v_add_f32_e32 v2, v2, v19
	v_add_f32_e32 v2, v2, v3
	;; [unrolled: 1-line block ×3, first 2 shown]
	v_sub_f32_e32 v18, v3, v18
	v_sub_f32_e32 v2, v2, v18
	v_mul_f32_e32 v18, v14, v3
	v_fma_f32 v3, v14, v3, -v18
	v_fmac_f32_e32 v3, v14, v2
	v_add_f32_e32 v2, v18, v3
	v_cmp_class_f32_e64 s[90:91], v18, s25
	v_sub_f32_e32 v19, v2, v18
	v_cndmask_b32_e64 v2, v2, v18, s[90:91]
	v_cmp_eq_f32_e64 s[90:91], s5, v2
	v_cndmask_b32_e64 v18, 0, v47, s[90:91]
	v_sub_f32_e32 v3, v3, v19
	v_sub_f32_e32 v19, v2, v18
	v_mul_f32_e32 v23, 0x3fb8aa3b, v19
	v_fma_f32 v24, v19, s55, -v23
	v_rndne_f32_e32 v25, v23
	v_fmac_f32_e32 v24, 0x32a5705f, v19
	v_sub_f32_e32 v23, v23, v25
	v_add_f32_e32 v23, v23, v24
	v_exp_f32_e32 v23, v23
	v_cvt_i32_f32_e32 v24, v25
	v_cmp_neq_f32_e64 s[90:91], |v2|, s6
	v_cndmask_b32_e64 v2, 0, v3, s[90:91]
	v_cmp_ngt_f32_e64 s[90:91], s4, v19
	v_ldexp_f32 v3, v23, v24
	v_cndmask_b32_e64 v3, 0, v3, s[90:91]
	v_cmp_nlt_f32_e64 s[90:91], s5, v19
	v_add_f32_e32 v2, v18, v2
	v_cndmask_b32_e64 v3, v17, v3, s[90:91]
	v_fma_f32 v2, v3, v2, v3
	v_cmp_class_f32_e64 s[90:91], v3, s25
	v_trunc_f32_e32 v18, v14
	v_cndmask_b32_e64 v2, v2, v3, s[90:91]
	v_cndmask_b32_e64 v3, v36, 1.0, vcc
	v_cmp_eq_f32_e32 vcc, v18, v14
	v_mul_f32_e32 v18, 0.5, v14
	v_trunc_f32_e32 v19, v18
	v_cmp_neq_f32_e64 s[90:91], v19, v18
	s_and_b64 s[90:91], vcc, s[90:91]
	v_cndmask_b32_e64 v18, 1.0, v3, s[90:91]
	v_bfi_b32 v2, s26, v2, v18
	v_cmp_eq_f32_e64 s[92:93], 0, v3
	v_cmp_gt_f32_e64 s[94:95], 0, v14
	v_cndmask_b32_e32 v18, v50, v2, vcc
	v_cmp_gt_f32_e32 vcc, 0, v3
	s_xor_b64 s[8:9], s[94:95], s[92:93]
	v_cvt_f32_i32_e32 v1, v1
	v_cndmask_b32_e32 v2, v2, v18, vcc
	v_cmp_eq_f32_e32 vcc, s6, v22
	v_cndmask_b32_e64 v14, v17, 0, s[8:9]
	v_cndmask_b32_e64 v18, 0, v3, s[90:91]
	v_bfi_b32 v14, s26, v14, v18
	s_or_b64 vcc, vcc, s[92:93]
	v_cndmask_b32_e32 v2, v2, v14, vcc
	v_cmp_o_f32_e32 vcc, v3, v3
	v_cndmask_b32_e32 v2, v50, v2, vcc
	v_mul_f32_e32 v1, v2, v1
	s_add_i32 s8, s46, 1
	v_cmp_eq_u32_e32 vcc, s46, v43
	v_fmac_f32_e32 v35, v15, v1
	s_or_b64 s[28:29], vcc, s[28:29]
	s_mov_b32 s46, s8
	s_andn2_b64 exec, exec, s[28:29]
	s_cbranch_execz .LBB0_86
.LBB0_268:                              ;   Parent Loop BB0_88 Depth=1
                                        ; =>  This Loop Header: Depth=2
                                        ;       Child Loop BB0_273 Depth 3
                                        ;         Child Loop BB0_276 Depth 4
                                        ;         Child Loop BB0_280 Depth 4
                                        ;         Child Loop BB0_286 Depth 4
                                        ;         Child Loop BB0_290 Depth 4
                                        ;         Child Loop BB0_294 Depth 4
                                        ;         Child Loop BB0_298 Depth 4
                                        ;       Child Loop BB0_302 Depth 3
                                        ;       Child Loop BB0_306 Depth 3
                                        ;       Child Loop BB0_313 Depth 3
                                        ;       Child Loop BB0_317 Depth 3
                                        ;       Child Loop BB0_321 Depth 3
                                        ;       Child Loop BB0_325 Depth 3
	v_mov_b32_e32 v15, 0
	s_and_saveexec_b64 s[96:97], s[56:57]
	s_cbranch_execz .LBB0_299
; %bb.269:                              ;   in Loop: Header=BB0_268 Depth=2
	v_add_u32_e32 v1, s46, v49
	s_mov_b32 s48, 0
	s_mov_b32 s47, -1
	s_mov_b64 s[34:35], 0
	v_mov_b32_e32 v15, 0
	v_lshlrev_b32_e32 v36, 2, v1
	v_mov_b32_e32 v14, v16
	v_mov_b32_e32 v22, v21
	s_branch .LBB0_273
.LBB0_270:                              ;   in Loop: Header=BB0_273 Depth=3
	s_or_b64 exec, exec, s[8:9]
.LBB0_271:                              ;   in Loop: Header=BB0_273 Depth=3
	s_or_b64 exec, exec, s[50:51]
.LBB0_272:                              ;   in Loop: Header=BB0_273 Depth=3
	s_or_b64 exec, exec, s[90:91]
	v_mul_lo_u32 v2, v2, s49
	v_sub_u32_e32 v19, 0, v2
	v_xor_b32_e32 v3, v39, v2
	v_max_i32_e32 v2, v2, v19
	v_cvt_f32_u32_e32 v19, v2
	v_sub_u32_e32 v23, 0, v2
	v_sub_u32_e32 v18, 0, v39
	v_max_i32_e32 v18, v39, v18
	v_rcp_iflag_f32_e32 v19, v19
	v_cvt_f32_i32_e32 v1, v1
	v_ashrrev_i32_e32 v3, 31, v3
	s_add_i32 s47, s47, 1
	v_mul_f32_e32 v19, 0x4f7ffffe, v19
	v_cvt_u32_f32_e32 v19, v19
	v_cndmask_b32_e64 v1, v1, 1.0, s[60:61]
	v_cmp_gt_f32_e64 s[94:95], 0, v1
	v_add_u32_e32 v14, -1, v14
	v_mul_lo_u32 v23, v23, v19
	v_mul_hi_u32 v23, v19, v23
	v_add_u32_e32 v19, v19, v23
	v_mul_hi_u32 v19, v18, v19
	v_mul_lo_u32 v23, v19, v2
	v_sub_u32_e32 v18, v18, v23
	v_cmp_ge_u32_e32 vcc, v18, v2
	v_add_u32_e32 v23, 1, v19
	v_cndmask_b32_e32 v19, v19, v23, vcc
	v_sub_u32_e32 v23, v18, v2
	v_cndmask_b32_e32 v18, v18, v23, vcc
	v_cmp_ge_u32_e32 vcc, v18, v2
	v_add_u32_e32 v2, 1, v19
	v_cndmask_b32_e32 v2, v19, v2, vcc
	v_xor_b32_e32 v2, v2, v3
	v_cmp_eq_f32_e32 vcc, 0, v1
	v_sub_u32_e32 v2, v2, v3
	v_cndmask_b32_e64 v48, |v58|, 1.0, vcc
	v_cvt_f32_i32_e32 v39, v2
	v_frexp_mant_f32_e32 v2, v48
	v_cmp_gt_f32_e64 s[90:91], s7, v2
	v_cndmask_b32_e64 v3, 1.0, 2.0, s[90:91]
	v_mul_f32_e32 v2, v2, v3
	v_add_f32_e32 v19, 1.0, v2
	s_waitcnt vmcnt(3)
	v_rcp_f32_e32 v28, v19
	v_add_f32_e32 v3, -1.0, v19
	v_sub_f32_e32 v23, v2, v3
	v_add_f32_e32 v3, -1.0, v2
	v_mul_f32_e32 v29, v3, v28
	v_mul_f32_e32 v18, v19, v29
	v_fma_f32 v24, v29, v19, -v18
	v_fmac_f32_e32 v24, v29, v23
	v_add_f32_e32 v2, v18, v24
	v_sub_f32_e32 v19, v3, v2
	v_pk_add_f32 v[26:27], v[2:3], v[18:19] neg_lo:[0,1] neg_hi:[0,1]
	v_mov_b32_e32 v25, v2
	v_pk_add_f32 v[2:3], v[26:27], v[24:25] neg_lo:[0,1] neg_hi:[0,1]
	v_add_f32_e32 v2, v2, v3
	v_add_f32_e32 v2, v19, v2
	v_mul_f32_e32 v3, v28, v2
	v_add_f32_e32 v2, v29, v3
	v_sub_f32_e32 v18, v2, v29
	v_sub_f32_e32 v23, v3, v18
	v_mul_f32_e32 v3, v2, v2
	v_fma_f32 v19, v2, v2, -v3
	v_add_f32_e32 v18, v23, v23
	v_fmac_f32_e32 v19, v2, v18
	v_add_f32_e32 v18, v3, v19
	v_mov_b32_e32 v24, 0x3e91f4c4
	v_fmac_f32_e32 v24, 0x3e76c4e1, v18
	v_fma_f32 v24, v18, v24, v42
	v_sub_f32_e32 v3, v18, v3
	v_sub_f32_e32 v30, v19, v3
	v_mul_f32_e32 v3, v18, v24
	v_fma_f32 v19, v18, v24, -v3
	v_fmac_f32_e32 v19, v30, v24
	v_add_f32_e32 v24, v3, v19
	v_add_f32_e32 v25, 0x3f2aaaaa, v24
	v_sub_f32_e32 v3, v24, v3
	v_sub_f32_e32 v3, v19, v3
	v_add_f32_e32 v19, 0xbf2aaaaa, v25
	v_add_f32_e32 v3, 0x31739010, v3
	v_sub_f32_e32 v19, v24, v19
	v_pk_mul_f32 v[26:27], v[2:3], v[18:19]
	v_fma_f32 v24, v18, v2, -v26
	v_pk_add_f32 v[28:29], v[2:3], v[18:19]
	v_fmac_f32_e32 v24, v18, v23
	v_mov_b32_e32 v27, v29
	v_fmac_f32_e32 v24, v30, v2
	v_pk_add_f32 v[18:19], v[26:27], v[24:25]
	v_sub_f32_e32 v3, v18, v26
	v_sub_f32_e32 v3, v24, v3
	;; [unrolled: 1-line block ×3, first 2 shown]
	v_add_f32_e32 v27, v29, v24
	v_mov_b32_e32 v24, v19
	v_pk_mul_f32 v[24:25], v[18:19], v[24:25]
	v_fma_f32 v26, v18, v19, -v24
	v_fmac_f32_e32 v26, v18, v27
	v_fmac_f32_e32 v26, v3, v19
	v_cvt_f64_f32_e32 v[18:19], v48
	v_frexp_exp_i32_f64_e32 v3, v[18:19]
	v_subbrev_co_u32_e64 v3, s[90:91], 0, v3, s[90:91]
	v_cvt_f32_i32_e32 v3, v3
	v_ldexp_f32 v29, v2, 1
	v_add_f32_e32 v19, v24, v26
	v_mov_b32_e32 v30, v19
	v_mul_f32_e32 v18, 0x3f317218, v3
	v_fma_f32 v28, v3, s24, -v18
	v_fmac_f32_e32 v28, 0xb102e308, v3
	v_pk_add_f32 v[2:3], v[18:19], v[28:29]
	v_mov_b32_e32 v31, v3
	v_mov_b32_e32 v25, v29
	v_pk_add_f32 v[24:25], v[30:31], v[24:25] neg_lo:[0,1] neg_hi:[0,1]
	v_mov_b32_e32 v27, v19
	v_ldexp_f32 v23, v23, 1
	v_pk_add_f32 v[24:25], v[26:27], v[24:25] neg_lo:[0,1] neg_hi:[0,1]
	v_add_f32_e32 v19, v23, v24
	v_add_f32_e32 v19, v19, v25
	v_pk_add_f32 v[24:25], v[2:3], v[18:19] neg_lo:[0,1] neg_hi:[0,1]
	v_pk_add_f32 v[26:27], v[2:3], v[18:19]
	v_mov_b32_e32 v30, v24
	v_mov_b32_e32 v31, v27
	;; [unrolled: 1-line block ×3, first 2 shown]
	v_pk_add_f32 v[30:31], v[28:29], v[30:31]
	v_mov_b32_e32 v18, v31
	v_pk_add_f32 v[32:33], v[18:19], v[2:3] neg_lo:[0,1] neg_hi:[0,1]
	v_mov_b32_e32 v23, v32
	v_mov_b32_e32 v30, v27
	;; [unrolled: 1-line block ×4, first 2 shown]
	v_pk_add_f32 v[24:25], v[28:29], v[24:25] neg_lo:[0,1] neg_hi:[0,1]
	v_pk_add_f32 v[40:41], v[26:27], v[22:23] neg_lo:[0,1] neg_hi:[0,1]
	;; [unrolled: 1-line block ×3, first 2 shown]
	v_mov_b32_e32 v28, v19
	v_pk_add_f32 v[2:3], v[28:29], v[2:3] neg_lo:[0,1] neg_hi:[0,1]
	v_mov_b32_e32 v40, v24
	v_pk_add_f32 v[26:27], v[40:41], v[2:3]
	v_mov_b32_e32 v28, v27
	v_pk_add_f32 v[28:29], v[26:27], v[28:29]
	v_pk_add_f32 v[18:19], v[18:19], v[28:29]
	v_mov_b32_e32 v25, v31
	v_mov_b32_e32 v27, v18
	v_pk_add_f32 v[30:31], v[26:27], v[24:25] neg_lo:[0,1] neg_hi:[0,1]
	v_mov_b32_e32 v3, v28
	v_sub_f32_e32 v19, v26, v30
	v_pk_add_f32 v[2:3], v[2:3], v[30:31] neg_lo:[0,1] neg_hi:[0,1]
	v_sub_f32_e32 v19, v24, v19
	v_add_f32_e32 v2, v2, v19
	v_add_f32_e32 v2, v2, v3
	;; [unrolled: 1-line block ×3, first 2 shown]
	v_sub_f32_e32 v18, v3, v18
	v_sub_f32_e32 v2, v2, v18
	v_mul_f32_e32 v18, v1, v3
	v_fma_f32 v3, v1, v3, -v18
	v_fmac_f32_e32 v3, v1, v2
	v_add_f32_e32 v2, v18, v3
	v_cmp_class_f32_e64 s[90:91], v18, s25
	v_sub_f32_e32 v19, v2, v18
	v_cndmask_b32_e64 v2, v2, v18, s[90:91]
	v_sub_f32_e32 v3, v3, v19
	v_cmp_neq_f32_e64 s[90:91], |v2|, s6
	v_cndmask_b32_e64 v3, 0, v3, s[90:91]
	v_cmp_eq_f32_e64 s[90:91], s5, v2
	v_cndmask_b32_e64 v18, 0, v47, s[90:91]
	v_sub_f32_e32 v2, v2, v18
	v_add_f32_e32 v3, v18, v3
	v_mul_f32_e32 v18, 0x3fb8aa3b, v2
	v_fma_f32 v19, v2, s55, -v18
	v_rndne_f32_e32 v23, v18
	v_fmac_f32_e32 v19, 0x32a5705f, v2
	v_sub_f32_e32 v18, v18, v23
	v_add_f32_e32 v18, v18, v19
	v_exp_f32_e32 v18, v18
	v_cvt_i32_f32_e32 v19, v23
	v_cmp_ngt_f32_e64 s[90:91], s4, v2
	v_add_u32_e32 v22, -1, v22
	v_ldexp_f32 v18, v18, v19
	v_cndmask_b32_e64 v18, 0, v18, s[90:91]
	v_cmp_nlt_f32_e64 s[90:91], s5, v2
	v_cndmask_b32_e64 v2, v17, v18, s[90:91]
	v_fma_f32 v3, v2, v3, v2
	v_cmp_class_f32_e64 s[90:91], v2, s25
	v_trunc_f32_e32 v18, v1
	v_cndmask_b32_e64 v2, v3, v2, s[90:91]
	v_cndmask_b32_e64 v3, v58, 1.0, vcc
	v_cmp_eq_f32_e32 vcc, v18, v1
	v_mul_f32_e32 v18, 0.5, v1
	v_trunc_f32_e32 v19, v18
	v_cmp_neq_f32_e64 s[90:91], v19, v18
	s_and_b64 s[90:91], vcc, s[90:91]
	v_cndmask_b32_e64 v18, 1.0, v3, s[90:91]
	v_bfi_b32 v2, s26, v2, v18
	v_cmp_gt_f32_e64 s[92:93], 0, v3
	v_cndmask_b32_e32 v18, v50, v2, vcc
	v_cndmask_b32_e64 v2, v2, v18, s[92:93]
	v_cmp_eq_f32_e64 s[92:93], 0, v3
	s_xor_b64 s[8:9], s[94:95], s[92:93]
	v_cmp_eq_f32_e32 vcc, s6, v48
	v_cndmask_b32_e64 v1, v17, 0, s[8:9]
	v_cndmask_b32_e64 v18, 0, v3, s[90:91]
	s_or_b64 vcc, vcc, s[92:93]
	v_bfi_b32 v1, s26, v1, v18
	v_cndmask_b32_e32 v1, v2, v1, vcc
	v_cmp_o_f32_e32 vcc, v3, v3
	v_cndmask_b32_e32 v1, v50, v1, vcc
	v_mul_f32_e32 v2, v1, v39
	v_add_u32_e32 v1, s48, v46
	v_mul_lo_u32 v1, v1, 28
	v_add3_u32 v1, v4, v1, v36
	buffer_load_dword v3, v1, s[0:3], 0 offen
	s_add_i32 s8, s48, 1
	v_cmp_eq_u32_e32 vcc, s48, v34
	s_or_b64 s[34:35], vcc, s[34:35]
	s_mov_b32 s48, s8
	s_waitcnt vmcnt(0)
	v_fmac_f32_e32 v15, v3, v2
	s_andn2_b64 exec, exec, s[34:35]
	s_cbranch_execz .LBB0_309
.LBB0_273:                              ;   Parent Loop BB0_88 Depth=1
                                        ;     Parent Loop BB0_268 Depth=2
                                        ; =>    This Loop Header: Depth=3
                                        ;         Child Loop BB0_276 Depth 4
                                        ;         Child Loop BB0_280 Depth 4
	;; [unrolled: 1-line block ×6, first 2 shown]
	v_mov_b32_e32 v39, 1
	s_and_saveexec_b64 s[90:91], s[58:59]
	s_cbranch_execz .LBB0_283
; %bb.274:                              ;   in Loop: Header=BB0_273 Depth=3
	s_mov_b64 s[8:9], -1
	v_mov_b32_e32 v39, 1
	v_mov_b32_e32 v1, 2
	s_and_saveexec_b64 s[92:93], s[82:83]
	s_cbranch_execz .LBB0_278
; %bb.275:                              ;   in Loop: Header=BB0_273 Depth=3
	s_mov_b32 s94, 1
	s_mov_b32 s8, 3
	;; [unrolled: 1-line block ×3, first 2 shown]
	s_mov_b64 s[50:51], 0
	v_accvgpr_read_b32 v1, a47
	s_mov_b32 s95, s94
.LBB0_276:                              ;   Parent Loop BB0_88 Depth=1
                                        ;     Parent Loop BB0_268 Depth=2
                                        ;       Parent Loop BB0_273 Depth=3
                                        ; =>      This Inner Loop Header: Depth=4
	v_add_u32_e32 v1, -2, v1
	s_mul_i32 s95, s95, s8
	s_mul_i32 s94, s94, s9
	s_add_i32 s9, s9, 2
	s_add_i32 s8, s8, 2
	v_cmp_eq_u32_e32 vcc, 0, v1
	s_or_b64 s[50:51], vcc, s[50:51]
	v_pk_mov_b32 v[2:3], s[94:95], s[94:95] op_sel:[0,1]
	s_andn2_b64 exec, exec, s[50:51]
	s_cbranch_execnz .LBB0_276
; %bb.277:                              ;   in Loop: Header=BB0_273 Depth=3
	s_or_b64 exec, exec, s[50:51]
	v_mul_lo_u32 v39, v2, v3
	s_orn2_b64 s[8:9], s[84:85], exec
	v_accvgpr_read_b32 v1, a53
.LBB0_278:                              ;   in Loop: Header=BB0_273 Depth=3
	s_or_b64 exec, exec, s[92:93]
	s_and_saveexec_b64 s[50:51], s[8:9]
	s_cbranch_execz .LBB0_282
; %bb.279:                              ;   in Loop: Header=BB0_273 Depth=3
	s_mov_b64 s[8:9], 0
.LBB0_280:                              ;   Parent Loop BB0_88 Depth=1
                                        ;     Parent Loop BB0_268 Depth=2
                                        ;       Parent Loop BB0_273 Depth=3
                                        ; =>      This Inner Loop Header: Depth=4
	v_mul_lo_u32 v39, v39, v1
	v_add_u32_e32 v1, 1, v1
	v_cmp_eq_u32_e32 vcc, v16, v1
	s_or_b64 s[8:9], vcc, s[8:9]
	s_andn2_b64 exec, exec, s[8:9]
	s_cbranch_execnz .LBB0_280
; %bb.281:                              ;   in Loop: Header=BB0_273 Depth=3
	s_or_b64 exec, exec, s[8:9]
.LBB0_282:                              ;   in Loop: Header=BB0_273 Depth=3
	s_or_b64 exec, exec, s[50:51]
.LBB0_283:                              ;   in Loop: Header=BB0_273 Depth=3
	s_or_b64 exec, exec, s[90:91]
	s_cmp_lt_u32 s48, 2
	s_mov_b32 s49, 1
	s_cbranch_scc1 .LBB0_291
; %bb.284:                              ;   in Loop: Header=BB0_273 Depth=3
	s_cmp_eq_u32 s48, 2
	s_mov_b32 s50, 2
	s_cbranch_scc1 .LBB0_288
; %bb.285:                              ;   in Loop: Header=BB0_273 Depth=3
	s_and_b32 s9, s47, -2
	s_mov_b32 s8, 1
	s_mov_b32 vcc_lo, 3
	s_mov_b32 vcc_hi, 2
.LBB0_286:                              ;   Parent Loop BB0_88 Depth=1
                                        ;     Parent Loop BB0_268 Depth=2
                                        ;       Parent Loop BB0_273 Depth=3
                                        ; =>      This Inner Loop Header: Depth=4
	s_mul_i32 s49, s49, vcc_lo
	s_mul_i32 s8, s8, vcc_hi
	s_add_i32 vcc_hi, vcc_hi, 2
	s_add_i32 vcc_lo, vcc_lo, 2
	s_add_i32 s9, s9, -2
	s_cmp_lg_u32 s9, 0
	s_cbranch_scc1 .LBB0_286
; %bb.287:                              ;   in Loop: Header=BB0_273 Depth=3
	s_add_i32 s9, s48, -1
	s_and_b32 vcc_lo, s9, -2
	s_add_i32 s50, vcc_lo, 2
	s_cmp_lg_u32 s9, vcc_lo
	s_mul_i32 s49, s8, s49
	s_cselect_b64 s[8:9], -1, 0
	s_and_b64 vcc, exec, s[8:9]
	s_cbranch_vccnz .LBB0_289
	s_branch .LBB0_291
.LBB0_288:                              ;   in Loop: Header=BB0_273 Depth=3
	s_cbranch_execz .LBB0_291
.LBB0_289:                              ;   in Loop: Header=BB0_273 Depth=3
	s_add_i32 s8, s48, 1
.LBB0_290:                              ;   Parent Loop BB0_88 Depth=1
                                        ;     Parent Loop BB0_268 Depth=2
                                        ;       Parent Loop BB0_273 Depth=3
                                        ; =>      This Inner Loop Header: Depth=4
	s_mul_i32 s49, s49, s50
	s_add_i32 s50, s50, 1
	s_cmp_lg_u32 s8, s50
	s_cbranch_scc1 .LBB0_290
.LBB0_291:                              ;   in Loop: Header=BB0_273 Depth=3
	v_subrev_u32_e32 v1, s48, v34
	v_cmp_lt_i32_e32 vcc, 1, v1
	v_mov_b32_e32 v2, 1
	s_and_saveexec_b64 s[90:91], vcc
	s_cbranch_execz .LBB0_272
; %bb.292:                              ;   in Loop: Header=BB0_273 Depth=3
	v_subrev_u32_e32 v48, s48, v21
	s_mov_b32 s94, 1
	v_cmp_lt_u32_e32 vcc, 1, v48
	s_mov_b64 s[8:9], -1
	v_mov_b32_e32 v2, 1
	v_mov_b32_e32 v19, 2
	s_and_saveexec_b64 s[92:93], vcc
	s_cbranch_execz .LBB0_296
; %bb.293:                              ;   in Loop: Header=BB0_273 Depth=3
	v_and_b32_e32 v19, -2, v22
	s_mov_b32 s8, 3
	s_mov_b32 s9, 2
	s_mov_b64 s[50:51], 0
	s_mov_b32 s95, s94
.LBB0_294:                              ;   Parent Loop BB0_88 Depth=1
                                        ;     Parent Loop BB0_268 Depth=2
                                        ;       Parent Loop BB0_273 Depth=3
                                        ; =>      This Inner Loop Header: Depth=4
	v_add_u32_e32 v19, -2, v19
	s_mul_i32 s95, s95, s8
	s_mul_i32 s94, s94, s9
	s_add_i32 s9, s9, 2
	s_add_i32 s8, s8, 2
	v_cmp_eq_u32_e32 vcc, 0, v19
	s_or_b64 s[50:51], vcc, s[50:51]
	v_pk_mov_b32 v[2:3], s[94:95], s[94:95] op_sel:[0,1]
	s_andn2_b64 exec, exec, s[50:51]
	s_cbranch_execnz .LBB0_294
; %bb.295:                              ;   in Loop: Header=BB0_273 Depth=3
	s_or_b64 exec, exec, s[50:51]
	v_and_b32_e32 v18, -2, v48
	v_cmp_ne_u32_e32 vcc, v48, v18
	v_add_u32_e32 v19, 2, v18
	v_mul_lo_u32 v2, v2, v3
	s_orn2_b64 s[8:9], vcc, exec
.LBB0_296:                              ;   in Loop: Header=BB0_273 Depth=3
	s_or_b64 exec, exec, s[92:93]
	s_and_saveexec_b64 s[50:51], s[8:9]
	s_cbranch_execz .LBB0_271
; %bb.297:                              ;   in Loop: Header=BB0_273 Depth=3
	s_mov_b64 s[8:9], 0
.LBB0_298:                              ;   Parent Loop BB0_88 Depth=1
                                        ;     Parent Loop BB0_268 Depth=2
                                        ;       Parent Loop BB0_273 Depth=3
                                        ; =>      This Inner Loop Header: Depth=4
	v_mul_lo_u32 v2, v2, v19
	v_add_u32_e32 v19, 1, v19
	v_cmp_eq_u32_e32 vcc, v14, v19
	s_or_b64 s[8:9], vcc, s[8:9]
	s_andn2_b64 exec, exec, s[8:9]
	s_cbranch_execnz .LBB0_298
	s_branch .LBB0_270
.LBB0_299:                              ;   in Loop: Header=BB0_268 Depth=2
	s_or_b64 exec, exec, s[96:97]
	v_mov_b32_e32 v14, 1
	s_and_saveexec_b64 s[34:35], s[62:63]
	s_cbranch_execz .LBB0_310
.LBB0_300:                              ;   in Loop: Header=BB0_268 Depth=2
	s_mov_b64 s[8:9], -1
	v_mov_b32_e32 v14, 1
	v_mov_b32_e32 v1, 2
	s_and_saveexec_b64 s[90:91], s[86:87]
	s_cbranch_execz .LBB0_304
; %bb.301:                              ;   in Loop: Header=BB0_268 Depth=2
	s_mov_b32 s92, 1
	s_mov_b32 s8, 3
	;; [unrolled: 1-line block ×3, first 2 shown]
	s_mov_b64 s[50:51], 0
	v_accvgpr_read_b32 v1, a48
	s_mov_b32 s93, s92
.LBB0_302:                              ;   Parent Loop BB0_88 Depth=1
                                        ;     Parent Loop BB0_268 Depth=2
                                        ; =>    This Inner Loop Header: Depth=3
	v_add_u32_e32 v1, -2, v1
	s_mul_i32 s93, s93, s8
	s_mul_i32 s92, s92, s9
	s_add_i32 s9, s9, 2
	s_add_i32 s8, s8, 2
	v_cmp_eq_u32_e32 vcc, 0, v1
	s_or_b64 s[50:51], vcc, s[50:51]
	v_pk_mov_b32 v[2:3], s[92:93], s[92:93] op_sel:[0,1]
	s_andn2_b64 exec, exec, s[50:51]
	s_cbranch_execnz .LBB0_302
; %bb.303:                              ;   in Loop: Header=BB0_268 Depth=2
	s_or_b64 exec, exec, s[50:51]
	v_mul_lo_u32 v14, v2, v3
	s_orn2_b64 s[8:9], s[88:89], exec
	v_accvgpr_read_b32 v1, a54
.LBB0_304:                              ;   in Loop: Header=BB0_268 Depth=2
	s_or_b64 exec, exec, s[90:91]
	s_and_saveexec_b64 s[50:51], s[8:9]
	s_cbranch_execz .LBB0_308
; %bb.305:                              ;   in Loop: Header=BB0_268 Depth=2
	s_mov_b64 s[8:9], 0
.LBB0_306:                              ;   Parent Loop BB0_88 Depth=1
                                        ;     Parent Loop BB0_268 Depth=2
                                        ; =>    This Inner Loop Header: Depth=3
	v_mul_lo_u32 v14, v14, v1
	v_add_u32_e32 v1, 1, v1
	v_cmp_eq_u32_e32 vcc, v6, v1
	s_or_b64 s[8:9], vcc, s[8:9]
	s_andn2_b64 exec, exec, s[8:9]
	s_cbranch_execnz .LBB0_306
; %bb.307:                              ;   in Loop: Header=BB0_268 Depth=2
	s_or_b64 exec, exec, s[8:9]
.LBB0_308:                              ;   in Loop: Header=BB0_268 Depth=2
	s_or_b64 exec, exec, s[50:51]
	s_or_b64 exec, exec, s[34:35]
	s_cmp_lt_u32 s46, 2
	s_mov_b32 s47, 1
	s_cbranch_scc1 .LBB0_318
	s_branch .LBB0_311
.LBB0_309:                              ;   in Loop: Header=BB0_268 Depth=2
	s_or_b64 exec, exec, s[34:35]
	s_or_b64 exec, exec, s[96:97]
	v_mov_b32_e32 v14, 1
	s_and_saveexec_b64 s[34:35], s[62:63]
	s_cbranch_execnz .LBB0_300
.LBB0_310:                              ;   in Loop: Header=BB0_268 Depth=2
	s_or_b64 exec, exec, s[34:35]
	s_cmp_lt_u32 s46, 2
	s_mov_b32 s47, 1
	s_cbranch_scc1 .LBB0_318
.LBB0_311:                              ;   in Loop: Header=BB0_268 Depth=2
	s_cmp_eq_u32 s46, 2
	s_mov_b32 s34, 2
	s_cbranch_scc1 .LBB0_315
; %bb.312:                              ;   in Loop: Header=BB0_268 Depth=2
	s_and_b32 s9, s27, -2
	s_mov_b32 s8, 1
	s_mov_b32 vcc_lo, 3
	s_mov_b32 vcc_hi, 2
	s_mov_b32 s35, 1
.LBB0_313:                              ;   Parent Loop BB0_88 Depth=1
                                        ;     Parent Loop BB0_268 Depth=2
                                        ; =>    This Inner Loop Header: Depth=3
	s_mul_i32 s35, s35, vcc_lo
	s_mul_i32 s8, s8, vcc_hi
	s_add_i32 vcc_hi, vcc_hi, 2
	s_add_i32 vcc_lo, vcc_lo, 2
	s_add_i32 s9, s9, -2
	s_cmp_lg_u32 s9, 0
	s_cbranch_scc1 .LBB0_313
; %bb.314:                              ;   in Loop: Header=BB0_268 Depth=2
	s_add_i32 s9, s46, -1
	s_and_b32 vcc_lo, s9, -2
	s_add_i32 s34, vcc_lo, 2
	s_cmp_lg_u32 s9, vcc_lo
	s_mul_i32 s47, s8, s35
	s_cselect_b64 s[8:9], -1, 0
	s_and_b64 vcc, exec, s[8:9]
	s_cbranch_vccnz .LBB0_316
	s_branch .LBB0_318
.LBB0_315:                              ;   in Loop: Header=BB0_268 Depth=2
	s_cbranch_execz .LBB0_318
.LBB0_316:                              ;   in Loop: Header=BB0_268 Depth=2
	s_add_i32 s8, s46, 1
.LBB0_317:                              ;   Parent Loop BB0_88 Depth=1
                                        ;     Parent Loop BB0_268 Depth=2
                                        ; =>    This Inner Loop Header: Depth=3
	s_mul_i32 s47, s47, s34
	s_add_i32 s34, s34, 1
	s_cmp_lg_u32 s8, s34
	s_cbranch_scc1 .LBB0_317
.LBB0_318:                              ;   in Loop: Header=BB0_268 Depth=2
	v_subrev_u32_e32 v1, s46, v43
	v_cmp_lt_i32_e32 vcc, 1, v1
	v_mov_b32_e32 v2, 1
	s_and_saveexec_b64 s[34:35], vcc
	s_cbranch_execz .LBB0_267
; %bb.319:                              ;   in Loop: Header=BB0_268 Depth=2
	v_accvgpr_read_b32 v2, a40
	v_subrev_u32_e32 v22, s46, v2
	s_mov_b32 s92, 1
	v_cmp_lt_u32_e32 vcc, 1, v22
	s_mov_b64 s[8:9], -1
	v_mov_b32_e32 v2, 1
	v_mov_b32_e32 v19, 2
	s_and_saveexec_b64 s[90:91], vcc
	s_cbranch_execz .LBB0_323
; %bb.320:                              ;   in Loop: Header=BB0_268 Depth=2
	v_and_b32_e32 v19, -2, v13
	s_mov_b32 s8, 3
	s_mov_b32 s9, 2
	s_mov_b64 s[50:51], 0
	s_mov_b32 s93, s92
.LBB0_321:                              ;   Parent Loop BB0_88 Depth=1
                                        ;     Parent Loop BB0_268 Depth=2
                                        ; =>    This Inner Loop Header: Depth=3
	v_add_u32_e32 v19, -2, v19
	s_mul_i32 s93, s93, s8
	s_mul_i32 s92, s92, s9
	s_add_i32 s9, s9, 2
	s_add_i32 s8, s8, 2
	v_cmp_eq_u32_e32 vcc, 0, v19
	s_or_b64 s[50:51], vcc, s[50:51]
	v_pk_mov_b32 v[2:3], s[92:93], s[92:93] op_sel:[0,1]
	s_andn2_b64 exec, exec, s[50:51]
	s_cbranch_execnz .LBB0_321
; %bb.322:                              ;   in Loop: Header=BB0_268 Depth=2
	s_or_b64 exec, exec, s[50:51]
	v_and_b32_e32 v18, -2, v22
	v_cmp_ne_u32_e32 vcc, v22, v18
	v_add_u32_e32 v19, 2, v18
	v_mul_lo_u32 v2, v2, v3
	s_orn2_b64 s[8:9], vcc, exec
.LBB0_323:                              ;   in Loop: Header=BB0_268 Depth=2
	s_or_b64 exec, exec, s[90:91]
	s_and_saveexec_b64 s[50:51], s[8:9]
	s_cbranch_execz .LBB0_266
; %bb.324:                              ;   in Loop: Header=BB0_268 Depth=2
	s_mov_b64 s[8:9], 0
.LBB0_325:                              ;   Parent Loop BB0_88 Depth=1
                                        ;     Parent Loop BB0_268 Depth=2
                                        ; =>    This Inner Loop Header: Depth=3
	v_mul_lo_u32 v2, v2, v19
	v_add_u32_e32 v19, 1, v19
	v_cmp_eq_u32_e32 vcc, v9, v19
	s_or_b64 s[8:9], vcc, s[8:9]
	s_andn2_b64 exec, exec, s[8:9]
	s_cbranch_execnz .LBB0_325
; %bb.326:                              ;   in Loop: Header=BB0_268 Depth=2
	s_or_b64 exec, exec, s[8:9]
	s_branch .LBB0_266
.LBB0_327:
	s_andn2_saveexec_b64 s[8:9], s[8:9]
	s_cbranch_execz .LBB0_82
.LBB0_328:
	s_mov_b32 s4, 0x34a10fb0
                                        ; implicit-def: $vgpr0_vgpr1
	v_cmp_ngt_f32_e32 vcc, s4, v16
	buffer_store_dword v0, off, s[0:3], s32 offset:392 ; 4-byte Folded Spill
	s_nop 0
	buffer_store_dword v1, off, s[0:3], s32 offset:396 ; 4-byte Folded Spill
	buffer_store_dword v2, off, s[0:3], s32 offset:400 ; 4-byte Folded Spill
	;; [unrolled: 1-line block ×6, first 2 shown]
                                        ; implicit-def: $vgpr21
                                        ; implicit-def: $vgpr2
                                        ; implicit-def: $vgpr5
	s_and_saveexec_b64 s[4:5], vcc
	s_xor_b64 s[10:11], exec, s[4:5]
	s_cbranch_execz .LBB0_447
; %bb.329:
                                        ; implicit-def: $vgpr0_vgpr1
	v_cmp_ngt_f32_e32 vcc, 1.0, v16
	buffer_store_dword v0, off, s[0:3], s32 offset:392 ; 4-byte Folded Spill
	s_nop 0
	buffer_store_dword v1, off, s[0:3], s32 offset:396 ; 4-byte Folded Spill
	buffer_store_dword v2, off, s[0:3], s32 offset:400 ; 4-byte Folded Spill
	buffer_store_dword v3, off, s[0:3], s32 offset:404 ; 4-byte Folded Spill
	buffer_store_dword v4, off, s[0:3], s32 offset:408 ; 4-byte Folded Spill
	buffer_store_dword v5, off, s[0:3], s32 offset:412 ; 4-byte Folded Spill
	buffer_store_dword v6, off, s[0:3], s32 offset:416 ; 4-byte Folded Spill
                                        ; implicit-def: $vgpr21
                                        ; implicit-def: $vgpr2
                                        ; implicit-def: $vgpr5
	s_and_saveexec_b64 s[4:5], vcc
	s_xor_b64 s[12:13], exec, s[4:5]
	s_cbranch_execz .LBB0_433
; %bb.330:
	s_mov_b32 s4, 0x40400000
                                        ; implicit-def: $vgpr0_vgpr1
	v_cmp_ngt_f32_e32 vcc, s4, v16
	buffer_store_dword v0, off, s[0:3], s32 offset:392 ; 4-byte Folded Spill
	s_nop 0
	buffer_store_dword v1, off, s[0:3], s32 offset:396 ; 4-byte Folded Spill
	buffer_store_dword v2, off, s[0:3], s32 offset:400 ; 4-byte Folded Spill
	buffer_store_dword v3, off, s[0:3], s32 offset:404 ; 4-byte Folded Spill
	buffer_store_dword v4, off, s[0:3], s32 offset:408 ; 4-byte Folded Spill
	buffer_store_dword v5, off, s[0:3], s32 offset:412 ; 4-byte Folded Spill
	buffer_store_dword v6, off, s[0:3], s32 offset:416 ; 4-byte Folded Spill
                                        ; implicit-def: $vgpr21
                                        ; implicit-def: $vgpr2
                                        ; implicit-def: $vgpr5
	s_and_saveexec_b64 s[4:5], vcc
	s_xor_b64 s[14:15], exec, s[4:5]
	s_cbranch_execz .LBB0_419
; %bb.331:
	s_mov_b32 s4, 0x40a00000
                                        ; implicit-def: $vgpr0_vgpr1
	v_cmp_ngt_f32_e32 vcc, s4, v16
	buffer_store_dword v0, off, s[0:3], s32 offset:392 ; 4-byte Folded Spill
	s_nop 0
	buffer_store_dword v1, off, s[0:3], s32 offset:396 ; 4-byte Folded Spill
	buffer_store_dword v2, off, s[0:3], s32 offset:400 ; 4-byte Folded Spill
	buffer_store_dword v3, off, s[0:3], s32 offset:404 ; 4-byte Folded Spill
	buffer_store_dword v4, off, s[0:3], s32 offset:408 ; 4-byte Folded Spill
	buffer_store_dword v5, off, s[0:3], s32 offset:412 ; 4-byte Folded Spill
	buffer_store_dword v6, off, s[0:3], s32 offset:416 ; 4-byte Folded Spill
                                        ; implicit-def: $vgpr21
                                        ; implicit-def: $vgpr2
                                        ; implicit-def: $vgpr5
	s_and_saveexec_b64 s[4:5], vcc
	s_xor_b64 s[16:17], exec, s[4:5]
	s_cbranch_execz .LBB0_405
; %bb.332:
	s_mov_b32 s4, 0x41200000
                                        ; implicit-def: $vgpr0_vgpr1
	v_cmp_ngt_f32_e32 vcc, s4, v16
	buffer_store_dword v0, off, s[0:3], s32 offset:392 ; 4-byte Folded Spill
	s_nop 0
	buffer_store_dword v1, off, s[0:3], s32 offset:396 ; 4-byte Folded Spill
	buffer_store_dword v2, off, s[0:3], s32 offset:400 ; 4-byte Folded Spill
	buffer_store_dword v3, off, s[0:3], s32 offset:404 ; 4-byte Folded Spill
	buffer_store_dword v4, off, s[0:3], s32 offset:408 ; 4-byte Folded Spill
	buffer_store_dword v5, off, s[0:3], s32 offset:412 ; 4-byte Folded Spill
	buffer_store_dword v6, off, s[0:3], s32 offset:416 ; 4-byte Folded Spill
                                        ; implicit-def: $vgpr21
                                        ; implicit-def: $vgpr2
                                        ; implicit-def: $vgpr5
	s_and_saveexec_b64 s[4:5], vcc
	s_xor_b64 s[18:19], exec, s[4:5]
	s_cbranch_execz .LBB0_390
; %bb.333:
	s_mov_b32 s4, 0x41700000
                                        ; implicit-def: $vgpr0_vgpr1
	v_cmp_ngt_f32_e32 vcc, s4, v16
	buffer_store_dword v0, off, s[0:3], s32 offset:392 ; 4-byte Folded Spill
	s_nop 0
	buffer_store_dword v1, off, s[0:3], s32 offset:396 ; 4-byte Folded Spill
	buffer_store_dword v2, off, s[0:3], s32 offset:400 ; 4-byte Folded Spill
	buffer_store_dword v3, off, s[0:3], s32 offset:404 ; 4-byte Folded Spill
	buffer_store_dword v4, off, s[0:3], s32 offset:408 ; 4-byte Folded Spill
	buffer_store_dword v5, off, s[0:3], s32 offset:412 ; 4-byte Folded Spill
	buffer_store_dword v6, off, s[0:3], s32 offset:416 ; 4-byte Folded Spill
                                        ; implicit-def: $vgpr21
                                        ; implicit-def: $vgpr2
                                        ; implicit-def: $vgpr5
	s_and_saveexec_b64 s[4:5], vcc
	s_xor_b64 s[20:21], exec, s[4:5]
	s_cbranch_execz .LBB0_375
; %bb.334:
	s_mov_b32 s4, 0x42040000
                                        ; implicit-def: $vgpr0_vgpr1
	v_cmp_ngt_f32_e32 vcc, s4, v16
	buffer_store_dword v0, off, s[0:3], s32 offset:392 ; 4-byte Folded Spill
	s_nop 0
	buffer_store_dword v1, off, s[0:3], s32 offset:396 ; 4-byte Folded Spill
	buffer_store_dword v2, off, s[0:3], s32 offset:400 ; 4-byte Folded Spill
	;; [unrolled: 1-line block ×6, first 2 shown]
                                        ; implicit-def: $vgpr21
                                        ; implicit-def: $vgpr2
                                        ; implicit-def: $vgpr5
	s_and_saveexec_b64 s[4:5], vcc
	s_xor_b64 s[22:23], exec, s[4:5]
	s_cbranch_execz .LBB0_356
; %bb.335:
	s_mov_b32 s24, 0x3f490fdb
	v_div_scale_f32 v0, s[4:5], v16, v16, s24
	v_rcp_f32_e32 v1, v0
	v_div_scale_f32 v2, vcc, s24, v16, s24
	s_mov_b32 s4, 0xf800000
	v_fma_f32 v3, -v0, v1, 1.0
	v_fmac_f32_e32 v1, v3, v1
	v_mul_f32_e32 v3, v2, v1
	v_fma_f32 v4, -v0, v3, v2
	v_fmac_f32_e32 v3, v4, v1
	v_fma_f32 v0, -v0, v3, v2
	v_div_fmas_f32 v0, v0, v1, v3
	v_div_fixup_f32 v0, v0, v16, s24
	v_mul_f32_e32 v1, 0x4f800000, v0
	v_cmp_gt_f32_e32 vcc, s4, v0
	v_cndmask_b32_e32 v0, v0, v1, vcc
	v_sqrt_f32_e32 v1, v0
                                        ; implicit-def: $vgpr21
	v_add_u32_e32 v2, -1, v1
	v_fma_f32 v3, -v2, v1, v0
	v_cmp_ge_f32_e64 s[4:5], 0, v3
	v_add_u32_e32 v3, 1, v1
	v_cndmask_b32_e64 v2, v1, v2, s[4:5]
	v_fma_f32 v1, -v3, v1, v0
	v_cmp_lt_f32_e64 s[4:5], 0, v1
	v_cndmask_b32_e64 v1, v2, v3, s[4:5]
	v_mul_f32_e32 v2, 0x37800000, v1
	v_cndmask_b32_e32 v1, v1, v2, vcc
	v_mov_b32_e32 v2, 0x260
	v_cmp_class_f32_e32 vcc, v0, v2
	v_cndmask_b32_e32 v2, v1, v0, vcc
	v_accvgpr_read_b32 v0, a16
	v_cmp_lt_i32_e32 vcc, 0, v0
                                        ; implicit-def: $vgpr0_vgpr1
	buffer_store_dword v0, off, s[0:3], s32 offset:392 ; 4-byte Folded Spill
	s_nop 0
	buffer_store_dword v1, off, s[0:3], s32 offset:396 ; 4-byte Folded Spill
	buffer_store_dword v2, off, s[0:3], s32 offset:400 ; 4-byte Folded Spill
	;; [unrolled: 1-line block ×6, first 2 shown]
                                        ; implicit-def: $vgpr5
	s_and_saveexec_b64 s[4:5], vcc
	s_xor_b64 s[4:5], exec, s[4:5]
	s_cbranch_execz .LBB0_351
; %bb.336:
	v_accvgpr_read_b32 v0, a16
	v_cmp_lt_i32_e32 vcc, 1, v0
                                        ; implicit-def: $vgpr0_vgpr1
	buffer_store_dword v0, off, s[0:3], s32 offset:392 ; 4-byte Folded Spill
	s_nop 0
	buffer_store_dword v1, off, s[0:3], s32 offset:396 ; 4-byte Folded Spill
	buffer_store_dword v2, off, s[0:3], s32 offset:400 ; 4-byte Folded Spill
	;; [unrolled: 1-line block ×6, first 2 shown]
                                        ; implicit-def: $vgpr21
                                        ; implicit-def: $vgpr5
	s_and_saveexec_b64 s[24:25], vcc
	s_xor_b64 s[24:25], exec, s[24:25]
	s_cbranch_execz .LBB0_344
; %bb.337:
	s_mov_b32 s26, 0
	v_accvgpr_read_b32 v0, a16
	s_mov_b32 s27, s26
	v_cmp_eq_u32_e32 vcc, 2, v0
	v_pk_mov_b32 v[0:1], s[26:27], s[26:27] op_sel:[0,1]
	buffer_store_dword v0, off, s[0:3], s32 offset:392 ; 4-byte Folded Spill
	s_nop 0
	buffer_store_dword v1, off, s[0:3], s32 offset:396 ; 4-byte Folded Spill
	buffer_store_dword v2, off, s[0:3], s32 offset:400 ; 4-byte Folded Spill
	;; [unrolled: 1-line block ×6, first 2 shown]
	v_mov_b32_e32 v21, 0
	v_mov_b32_e32 v20, 0
	;; [unrolled: 1-line block ×3, first 2 shown]
	s_and_saveexec_b64 s[26:27], vcc
	s_cbranch_execz .LBB0_343
; %bb.338:
	s_mov_b32 s28, 0x423c0000
                                        ; implicit-def: $vgpr0_vgpr1
	v_cmp_ngt_f32_e32 vcc, s28, v16
	buffer_store_dword v0, off, s[0:3], s32 offset:392 ; 4-byte Folded Spill
	s_nop 0
	buffer_store_dword v1, off, s[0:3], s32 offset:396 ; 4-byte Folded Spill
	buffer_store_dword v2, off, s[0:3], s32 offset:400 ; 4-byte Folded Spill
	;; [unrolled: 1-line block ×6, first 2 shown]
                                        ; implicit-def: $vgpr21
                                        ; implicit-def: $vgpr5
	s_and_saveexec_b64 s[28:29], vcc
	s_xor_b64 s[28:29], exec, s[28:29]
	s_cbranch_execz .LBB0_340
; %bb.339:
	s_mov_b32 s30, 0xbe42ba39
	s_mov_b32 s31, 0xbfe46a42
	v_pk_add_f32 v[0:1], v[16:17], s[30:31] op_sel_hi:[0,1]
	s_mov_b32 s34, 0x3fe46a42
	v_div_scale_f32 v3, vcc, v1, v1, s34
	v_rcp_f32_e32 v4, v3
	s_mov_b32 s35, 0x3e42ba39
	v_fma_f32 v5, -v3, v4, 1.0
	v_fmac_f32_e32 v4, v5, v4
	v_div_scale_f32 v5, vcc, s34, v1, s34
	v_mul_f32_e32 v6, v5, v4
	v_fma_f32 v7, -v3, v6, v5
	v_fmac_f32_e32 v6, v7, v4
	v_fma_f32 v3, -v3, v6, v5
	v_div_scale_f32 v5, s[30:31], v0, v0, s35
	v_rcp_f32_e32 v7, v5
	v_div_fmas_f32 v3, v3, v4, v6
	v_div_fixup_f32 v9, v3, v1, s34
	s_mov_b32 s34, 0x40b0cf9e
	v_fma_f32 v1, -v5, v7, 1.0
	v_fmac_f32_e32 v7, v1, v7
	v_div_scale_f32 v1, vcc, s35, v0, s35
	v_mul_f32_e32 v3, v1, v7
	v_fma_f32 v4, -v5, v3, v1
	v_fmac_f32_e32 v3, v4, v7
	v_add_f32_e32 v4, 0xc0b0cf9e, v16
	v_fma_f32 v1, -v5, v3, v1
	v_div_scale_f32 v5, s[30:31], v4, v4, s34
	v_rcp_f32_e32 v6, v5
	v_div_fmas_f32 v1, v1, v7, v3
	v_div_fixup_f32 v8, v1, v0, s35
	s_mov_b32 s30, 0x3e357c2c
	v_fma_f32 v0, -v5, v6, 1.0
	v_fmac_f32_e32 v6, v0, v6
	v_div_scale_f32 v0, vcc, s34, v4, s34
	v_mul_f32_e32 v1, v0, v6
	v_fma_f32 v3, -v5, v1, v0
	v_fmac_f32_e32 v1, v3, v6
	v_fma_f32 v0, -v5, v1, v0
	s_mov_b32 s31, 0x3ba77ef2
	v_div_fmas_f32 v0, v0, v6, v1
	v_pk_mul_f32 v[20:21], v[2:3], s[30:31] op_sel_hi:[0,1]
	v_div_fixup_f32 v5, v0, v4, s34
	v_sub_f32_e32 v0, v2, v20
	buffer_store_dword v8, off, s[0:3], s32 offset:392 ; 4-byte Folded Spill
	s_nop 0
	buffer_store_dword v9, off, s[0:3], s32 offset:396 ; 4-byte Folded Spill
	buffer_store_dword v10, off, s[0:3], s32 offset:400 ; 4-byte Folded Spill
	;; [unrolled: 1-line block ×6, first 2 shown]
	v_sub_f32_e32 v2, v0, v21
                                        ; implicit-def: $vgpr16
.LBB0_340:
	s_andn2_saveexec_b64 s[28:29], s[28:29]
	s_cbranch_execz .LBB0_342
; %bb.341:
	v_mul_f32_e32 v0, 0xbfb8aa3b, v16
	s_mov_b32 s30, 0xbfb8aa3b
	v_rndne_f32_e32 v1, v0
	v_sub_f32_e32 v3, v0, v1
	v_fma_f32 v0, v16, s30, -v0
	v_fmac_f32_e32 v0, 0xb2a5705f, v16
	v_add_f32_e32 v0, v3, v0
	v_exp_f32_e32 v0, v0
	v_cvt_i32_f32_e32 v1, v1
	s_mov_b32 s30, 0x42ce8ed0
	v_cmp_nlt_f32_e32 vcc, s30, v16
	s_mov_b32 s30, 0xc2b17218
	v_ldexp_f32 v0, v0, v1
	s_mov_b32 s34, 0xbe42ba39
	v_cndmask_b32_e32 v0, 0, v0, vcc
	v_mov_b32_e32 v1, 0x7f800000
	v_cmp_ngt_f32_e32 vcc, s30, v16
	s_mov_b32 s35, 0xbfe46a42
	v_cndmask_b32_e32 v4, v1, v0, vcc
	v_pk_add_f32 v[0:1], v[16:17], s[34:35] op_sel_hi:[0,1]
	s_mov_b32 s34, 0x3fe46a42
	v_div_scale_f32 v3, vcc, v1, v1, s34
	v_rcp_f32_e32 v5, v3
	s_mov_b32 s30, 0xc0ec7fab
	s_mov_b32 s31, 0xc293bec9
	v_mov_b32_e32 v6, 0x43a0a8c0
	v_fma_f32 v8, -v3, v5, 1.0
	v_fmac_f32_e32 v5, v8, v5
	v_div_scale_f32 v8, vcc, s34, v1, s34
	v_mov_b32_e32 v7, 0x4543fb32
	v_mul_f32_e32 v9, v8, v5
	v_pk_fma_f32 v[6:7], v[16:17], s[30:31], v[6:7] op_sel_hi:[0,1,1]
	s_mov_b32 s30, 0xc579a564
	v_fma_f32 v10, -v3, v9, v8
	s_mov_b32 s31, 0xc7171e49
	v_fmac_f32_e32 v9, v10, v5
	s_mov_b32 s35, 0x3e42ba39
	v_pk_fma_f32 v[6:7], v[16:17], v[6:7], s[30:31] op_sel_hi:[0,1,1]
	v_fma_f32 v3, -v3, v9, v8
	v_div_scale_f32 v8, s[30:31], v0, v0, s35
	v_rcp_f32_e32 v10, v8
	v_div_fmas_f32 v3, v3, v5, v9
	v_div_fixup_f32 v1, v3, v1, s34
	s_mov_b32 s30, 0x40b0cf9e
	v_fma_f32 v3, -v8, v10, 1.0
	v_fmac_f32_e32 v10, v3, v10
	v_div_scale_f32 v3, vcc, s35, v0, s35
	v_mul_f32_e32 v5, v3, v10
	v_fma_f32 v9, -v8, v5, v3
	v_fmac_f32_e32 v5, v9, v10
	v_fma_f32 v3, -v8, v5, v3
	v_div_fmas_f32 v3, v3, v10, v5
	v_div_fixup_f32 v0, v3, v0, s35
	v_pk_fma_f32 v[0:1], v[4:5], v[6:7], v[0:1] op_sel_hi:[0,1,1]
	buffer_store_dword v0, off, s[0:3], s32 offset:392 ; 4-byte Folded Spill
	s_nop 0
	buffer_store_dword v1, off, s[0:3], s32 offset:396 ; 4-byte Folded Spill
	buffer_store_dword v2, off, s[0:3], s32 offset:400 ; 4-byte Folded Spill
	;; [unrolled: 1-line block ×6, first 2 shown]
	v_add_f32_e32 v1, 0xc0b0cf9e, v16
	v_div_scale_f32 v3, vcc, v1, v1, s30
	v_rcp_f32_e32 v5, v3
	v_mov_b32_e32 v0, 0x462324de
	v_fmac_f32_e32 v0, 0xc383e013, v16
	v_mov_b32_e32 v6, 0xc7fa2f4a
	v_fmac_f32_e32 v6, v16, v0
	v_fma_f32 v0, -v3, v5, 1.0
	v_fmac_f32_e32 v5, v0, v5
	v_div_scale_f32 v0, vcc, s30, v1, s30
	v_mul_f32_e32 v7, v0, v5
	v_fma_f32 v8, -v3, v7, v0
	v_fmac_f32_e32 v7, v8, v5
	v_fma_f32 v0, -v3, v7, v0
	v_div_fmas_f32 v0, v0, v5, v7
	v_div_fixup_f32 v5, v0, v1, s30
	v_mov_b32_e32 v0, 0xc104e7e9
	v_fmac_f32_e32 v0, 0x3e1be9c5, v16
	v_mov_b32_e32 v1, 0x4340fa35
	v_fmac_f32_e32 v1, v16, v0
	;; [unrolled: 2-line block ×3, first 2 shown]
	v_mov_b32_e32 v1, 0x4714bf6e
	v_mul_f32_e32 v21, v4, v0
	v_mov_b32_e32 v0, 0xc5367ce7
	v_fmac_f32_e32 v0, 0x42760770, v16
	v_fmac_f32_e32 v1, v16, v0
	v_mul_f32_e32 v20, v4, v1
	v_fmac_f32_e32 v20, 0x3e357c2c, v2
	v_fmac_f32_e32 v21, 0x3ba77ef2, v2
	v_sub_f32_e32 v0, v2, v20
	v_fmac_f32_e32 v5, v4, v6
	v_sub_f32_e32 v2, v0, v21
.LBB0_342:
	s_or_b64 exec, exec, s[28:29]
.LBB0_343:
	s_or_b64 exec, exec, s[26:27]
                                        ; implicit-def: $vgpr16
.LBB0_344:
	s_andn2_saveexec_b64 s[24:25], s[24:25]
	s_cbranch_execz .LBB0_350
; %bb.345:
	s_mov_b32 s26, 0x42200000
	v_cmp_ngt_f32_e32 vcc, s26, v16
                                        ; implicit-def: $vgpr0_vgpr1
	buffer_store_dword v0, off, s[0:3], s32 offset:392 ; 4-byte Folded Spill
	s_nop 0
	buffer_store_dword v1, off, s[0:3], s32 offset:396 ; 4-byte Folded Spill
	buffer_store_dword v2, off, s[0:3], s32 offset:400 ; 4-byte Folded Spill
	;; [unrolled: 1-line block ×6, first 2 shown]
                                        ; implicit-def: $vgpr20
                                        ; implicit-def: $sgpr28
	s_and_saveexec_b64 s[26:27], vcc
	s_xor_b64 s[26:27], exec, s[26:27]
	s_cbranch_execz .LBB0_347
; %bb.346:
	s_mov_b32 s28, 0xbe8cee3d
	s_mov_b32 s29, 0xc02e6238
	v_pk_add_f32 v[0:1], v[16:17], s[28:29] op_sel_hi:[0,1]
	s_mov_b32 s30, 0x402e6238
	v_div_scale_f32 v3, s[28:29], v1, v1, s30
	v_rcp_f32_e32 v4, v3
	s_mov_b32 s31, 0x3e8cee3d
	v_mul_f32_e32 v20, 0x3dbbe852, v2
	v_fmac_f32_e32 v2, 0xbdbbe852, v2
	v_fma_f32 v5, -v3, v4, 1.0
	v_fmac_f32_e32 v4, v5, v4
	v_div_scale_f32 v5, vcc, s30, v1, s30
	v_mul_f32_e32 v6, v5, v4
	v_fma_f32 v7, -v3, v6, v5
	v_fmac_f32_e32 v6, v7, v4
	v_fma_f32 v3, -v3, v6, v5
	v_div_scale_f32 v5, s[28:29], v0, v0, s31
	v_rcp_f32_e32 v7, v5
	v_div_fmas_f32 v3, v3, v4, v6
	v_div_fixup_f32 v9, v3, v1, s30
	s_mov_b32 s28, 0
	v_fma_f32 v1, -v5, v7, 1.0
	v_fmac_f32_e32 v7, v1, v7
	v_div_scale_f32 v1, vcc, s31, v0, s31
	v_mul_f32_e32 v3, v1, v7
	v_fma_f32 v4, -v5, v3, v1
	v_fmac_f32_e32 v3, v4, v7
	v_fma_f32 v1, -v5, v3, v1
	v_div_fmas_f32 v1, v1, v7, v3
	v_div_fixup_f32 v8, v1, v0, s31
	buffer_store_dword v8, off, s[0:3], s32 offset:392 ; 4-byte Folded Spill
	s_nop 0
	buffer_store_dword v9, off, s[0:3], s32 offset:396 ; 4-byte Folded Spill
	buffer_store_dword v10, off, s[0:3], s32 offset:400 ; 4-byte Folded Spill
	;; [unrolled: 1-line block ×6, first 2 shown]
                                        ; implicit-def: $vgpr16
.LBB0_347:
	s_or_saveexec_b64 s[26:27], s[26:27]
	v_mov_b32_e32 v21, s28
	s_xor_b64 exec, exec, s[26:27]
	s_cbranch_execz .LBB0_349
; %bb.348:
	v_mul_f32_e32 v0, 0xbfb8aa3b, v16
	s_mov_b32 s28, 0xbfb8aa3b
	v_rndne_f32_e32 v1, v0
	v_sub_f32_e32 v3, v0, v1
	v_fma_f32 v0, v16, s28, -v0
	v_fmac_f32_e32 v0, 0xb2a5705f, v16
	v_add_f32_e32 v0, v3, v0
	v_exp_f32_e32 v0, v0
	v_cvt_i32_f32_e32 v1, v1
	s_mov_b32 s28, 0x42ce8ed0
	v_cmp_nlt_f32_e32 vcc, s28, v16
	s_mov_b32 s28, 0xc2b17218
	v_ldexp_f32 v0, v0, v1
	s_mov_b32 s30, 0xbe8cee3d
	v_cndmask_b32_e32 v0, 0, v0, vcc
	v_mov_b32_e32 v1, 0x7f800000
	v_cmp_ngt_f32_e32 vcc, s28, v16
	s_mov_b32 s31, 0xc02e6238
	v_cndmask_b32_e32 v4, v1, v0, vcc
	v_pk_add_f32 v[0:1], v[16:17], s[30:31] op_sel_hi:[0,1]
	s_mov_b32 s30, 0x402e6238
	v_div_scale_f32 v3, vcc, v1, v1, s30
	v_rcp_f32_e32 v5, v3
	s_mov_b32 s28, 0xbf6102b1
	s_mov_b32 s29, 0xc1149fe8
	v_mov_b32_e32 v6, 0x412eca38
	v_fma_f32 v8, -v3, v5, 1.0
	v_fmac_f32_e32 v5, v8, v5
	v_div_scale_f32 v8, vcc, s30, v1, s30
	v_mul_f32_e32 v9, v8, v5
	v_fma_f32 v10, -v3, v9, v8
	v_mov_b32_e32 v7, 0x42a220e4
	v_fmac_f32_e32 v9, v10, v5
	s_mov_b32 s31, 0x3e8cee3d
	v_pk_fma_f32 v[6:7], v[16:17], s[28:29], v[6:7] op_sel_hi:[0,1,1]
	v_fma_f32 v3, -v3, v9, v8
	v_div_scale_f32 v8, s[28:29], v0, v0, s31
	v_rcp_f32_e32 v10, v8
	v_div_fmas_f32 v3, v3, v5, v9
	v_div_fixup_f32 v1, v3, v1, s30
	v_mov_b32_e32 v21, 0
	v_fma_f32 v3, -v8, v10, 1.0
	v_fmac_f32_e32 v10, v3, v10
	v_div_scale_f32 v3, vcc, s31, v0, s31
	v_mul_f32_e32 v5, v3, v10
	v_fma_f32 v9, -v8, v5, v3
	v_fmac_f32_e32 v5, v9, v10
	v_fma_f32 v3, -v8, v5, v3
	v_div_fmas_f32 v3, v3, v10, v5
	v_div_fixup_f32 v0, v3, v0, s31
	v_pk_fma_f32 v[0:1], v[4:5], v[6:7], v[0:1] op_sel_hi:[0,1,1]
	buffer_store_dword v0, off, s[0:3], s32 offset:392 ; 4-byte Folded Spill
	s_nop 0
	buffer_store_dword v1, off, s[0:3], s32 offset:396 ; 4-byte Folded Spill
	buffer_store_dword v2, off, s[0:3], s32 offset:400 ; 4-byte Folded Spill
	;; [unrolled: 1-line block ×6, first 2 shown]
	v_mov_b32_e32 v0, 0xc29bd9a2
	v_fmac_f32_e32 v0, 0x408efe8f, v16
	v_mul_f32_e32 v20, 0x3dbbe852, v2
	v_fmac_f32_e32 v20, v4, v0
	v_sub_f32_e32 v2, v2, v20
.LBB0_349:
	s_or_b64 exec, exec, s[26:27]
	v_mov_b32_e32 v5, v21
.LBB0_350:
	s_or_b64 exec, exec, s[24:25]
                                        ; implicit-def: $vgpr16
.LBB0_351:
	s_andn2_saveexec_b64 s[4:5], s[4:5]
	s_cbranch_execz .LBB0_355
; %bb.352:
	s_mov_b32 s24, 0
	v_accvgpr_read_b32 v0, a16
	s_mov_b32 s25, s24
	v_cmp_eq_u32_e32 vcc, 0, v0
	v_pk_mov_b32 v[0:1], s[24:25], s[24:25] op_sel:[0,1]
	buffer_store_dword v0, off, s[0:3], s32 offset:392 ; 4-byte Folded Spill
	s_nop 0
	buffer_store_dword v1, off, s[0:3], s32 offset:396 ; 4-byte Folded Spill
	buffer_store_dword v2, off, s[0:3], s32 offset:400 ; 4-byte Folded Spill
	;; [unrolled: 1-line block ×6, first 2 shown]
	s_and_saveexec_b64 s[24:25], vcc
	s_cbranch_execz .LBB0_354
; %bb.353:
	v_add_f32_e32 v0, -0.5, v16
	v_div_scale_f32 v1, s[26:27], v0, v0, 0.5
	v_rcp_f32_e32 v3, v1
	v_div_scale_f32 v4, vcc, 0.5, v0, 0.5
	v_fma_f32 v5, -v1, v3, 1.0
	v_fmac_f32_e32 v3, v5, v3
	v_mul_f32_e32 v5, v4, v3
	v_fma_f32 v6, -v1, v5, v4
	v_fmac_f32_e32 v5, v6, v3
	v_fma_f32 v1, -v1, v5, v4
	v_div_fmas_f32 v1, v1, v3, v5
	v_div_fixup_f32 v0, v1, v0, 0.5
	v_mov_b32_e32 v1, 0
	buffer_store_dword v0, off, s[0:3], s32 offset:392 ; 4-byte Folded Spill
	s_nop 0
	buffer_store_dword v1, off, s[0:3], s32 offset:396 ; 4-byte Folded Spill
	buffer_store_dword v2, off, s[0:3], s32 offset:400 ; 4-byte Folded Spill
	;; [unrolled: 1-line block ×6, first 2 shown]
.LBB0_354:
	s_or_b64 exec, exec, s[24:25]
	v_mov_b32_e32 v21, 0
	v_mov_b32_e32 v20, 0
	v_mov_b32_e32 v5, 0
.LBB0_355:
	s_or_b64 exec, exec, s[4:5]
                                        ; implicit-def: $vgpr16
.LBB0_356:
	s_andn2_saveexec_b64 s[22:23], s[22:23]
	s_cbranch_execz .LBB0_374
; %bb.357:
	v_mul_f32_e32 v0, 0xbfb8aa3b, v16
	s_mov_b32 s4, 0xbfb8aa3b
	v_rndne_f32_e32 v1, v0
	v_sub_f32_e32 v2, v0, v1
	v_fma_f32 v0, v16, s4, -v0
	v_fmac_f32_e32 v0, 0xb2a5705f, v16
	s_mov_b32 s24, 0x3e48f136
	v_add_f32_e32 v0, v2, v0
	v_div_scale_f32 v2, s[4:5], v16, v16, s24
	v_exp_f32_e32 v0, v0
	v_cvt_i32_f32_e32 v1, v1
	v_rcp_f32_e32 v3, v2
	s_mov_b32 s25, 0x42ce8ed0
                                        ; implicit-def: $vgpr21
	v_ldexp_f32 v0, v0, v1
	v_fma_f32 v1, -v2, v3, 1.0
	v_fmac_f32_e32 v3, v1, v3
	v_div_scale_f32 v1, vcc, s24, v16, s24
	v_mul_f32_e32 v4, v1, v3
	v_fma_f32 v5, -v2, v4, v1
	v_fmac_f32_e32 v4, v5, v3
	v_fma_f32 v1, -v2, v4, v1
	v_div_fmas_f32 v1, v1, v3, v4
	v_div_fixup_f32 v1, v1, v16, s24
	v_add_f32_e32 v1, 0xbefe708c, v1
	v_div_scale_f32 v2, s[4:5], v16, v16, v1
	v_rcp_f32_e32 v3, v2
	v_cmp_nlt_f32_e32 vcc, s25, v16
	v_cndmask_b32_e32 v0, 0, v0, vcc
	s_mov_b32 s25, 0x3f490fdb
	v_fma_f32 v5, -v2, v3, 1.0
	v_fmac_f32_e32 v3, v5, v3
	v_div_scale_f32 v5, vcc, v1, v16, v1
	v_mul_f32_e32 v6, v5, v3
	v_fma_f32 v7, -v2, v6, v5
	v_fmac_f32_e32 v6, v7, v3
	v_div_scale_f32 v7, s[4:5], v16, v16, s25
	v_rcp_f32_e32 v8, v7
	v_fma_f32 v2, -v2, v6, v5
	v_div_fmas_f32 v2, v2, v3, v6
	s_mov_b32 s4, 0xf800000
	v_fma_f32 v3, -v7, v8, 1.0
	v_fmac_f32_e32 v8, v3, v8
	v_div_scale_f32 v3, vcc, s25, v16, s25
	v_mul_f32_e32 v5, v3, v8
	v_fma_f32 v6, -v7, v5, v3
	v_fmac_f32_e32 v5, v6, v8
	v_fma_f32 v3, -v7, v5, v3
	v_div_fmas_f32 v3, v3, v8, v5
	v_div_fixup_f32 v3, v3, v16, s25
	v_mul_f32_e32 v5, 0x4f800000, v3
	v_cmp_gt_f32_e32 vcc, s4, v3
	v_cndmask_b32_e32 v3, v3, v5, vcc
	v_sqrt_f32_e32 v5, v3
	s_mov_b32 s24, 0xc2b17218
	v_mov_b32_e32 v4, 0x7f800000
	v_cmp_ngt_f32_e64 s[4:5], s24, v16
	v_cndmask_b32_e64 v4, v4, v0, s[4:5]
	v_div_fixup_f32 v0, v2, v16, v1
	v_add_u32_e32 v1, -1, v5
	v_fma_f32 v2, -v1, v5, v3
	v_cmp_ge_f32_e64 s[4:5], 0, v2
	v_add_u32_e32 v2, 1, v5
	v_cndmask_b32_e64 v1, v5, v1, s[4:5]
	v_fma_f32 v5, -v2, v5, v3
	v_cmp_lt_f32_e64 s[4:5], 0, v5
	v_cndmask_b32_e64 v1, v1, v2, s[4:5]
	v_mul_f32_e32 v2, 0x37800000, v1
	v_cndmask_b32_e32 v1, v1, v2, vcc
	v_mov_b32_e32 v2, 0x260
	v_cmp_class_f32_e32 vcc, v3, v2
	v_add_f32_e32 v0, 0xb87c50a3, v0
	v_cndmask_b32_e32 v2, v1, v3, vcc
	v_fmac_f32_e32 v2, v4, v0
	v_sub_f32_e32 v0, v2, v4
	v_add_f32_e32 v3, v16, v16
	v_div_scale_f32 v1, s[4:5], v3, v3, v0
	v_rcp_f32_e32 v5, v1
	v_fma_f32 v6, -v1, v5, 1.0
	v_fmac_f32_e32 v5, v6, v5
	v_div_scale_f32 v6, vcc, v0, v3, v0
	v_mul_f32_e32 v7, v6, v5
	v_fma_f32 v8, -v1, v7, v6
	v_fmac_f32_e32 v7, v8, v5
	v_fma_f32 v1, -v1, v7, v6
	v_div_fmas_f32 v1, v1, v5, v7
	v_div_fixup_f32 v6, v1, v3, v0
	v_accvgpr_read_b32 v0, a16
	v_cmp_lt_i32_e32 vcc, 0, v0
                                        ; implicit-def: $vgpr0_vgpr1
	buffer_store_dword v0, off, s[0:3], s32 offset:392 ; 4-byte Folded Spill
	s_nop 0
	buffer_store_dword v1, off, s[0:3], s32 offset:396 ; 4-byte Folded Spill
	buffer_store_dword v2, off, s[0:3], s32 offset:400 ; 4-byte Folded Spill
	;; [unrolled: 1-line block ×6, first 2 shown]
                                        ; implicit-def: $vgpr5
	s_and_saveexec_b64 s[4:5], vcc
	s_xor_b64 s[4:5], exec, s[4:5]
	s_cbranch_execz .LBB0_369
; %bb.358:
	v_accvgpr_read_b32 v0, a16
	v_cmp_lt_i32_e32 vcc, 1, v0
                                        ; implicit-def: $vgpr0_vgpr1
	buffer_store_dword v0, off, s[0:3], s32 offset:392 ; 4-byte Folded Spill
	s_nop 0
	buffer_store_dword v1, off, s[0:3], s32 offset:396 ; 4-byte Folded Spill
	buffer_store_dword v2, off, s[0:3], s32 offset:400 ; 4-byte Folded Spill
	;; [unrolled: 1-line block ×6, first 2 shown]
                                        ; implicit-def: $vgpr21
                                        ; implicit-def: $vgpr5
	s_and_saveexec_b64 s[24:25], vcc
	s_xor_b64 s[24:25], exec, s[24:25]
	s_cbranch_execz .LBB0_366
; %bb.359:
	s_mov_b32 s26, 0
	v_accvgpr_read_b32 v0, a16
	s_mov_b32 s27, s26
	v_cmp_eq_u32_e32 vcc, 2, v0
	v_pk_mov_b32 v[0:1], s[26:27], s[26:27] op_sel:[0,1]
	buffer_store_dword v0, off, s[0:3], s32 offset:392 ; 4-byte Folded Spill
	s_nop 0
	buffer_store_dword v1, off, s[0:3], s32 offset:396 ; 4-byte Folded Spill
	buffer_store_dword v2, off, s[0:3], s32 offset:400 ; 4-byte Folded Spill
	;; [unrolled: 1-line block ×6, first 2 shown]
	v_mov_b32_e32 v21, 0
	v_mov_b32_e32 v20, 0
	;; [unrolled: 1-line block ×3, first 2 shown]
	s_and_saveexec_b64 s[26:27], vcc
	s_cbranch_execz .LBB0_365
; %bb.360:
	s_mov_b32 s28, 0x41a00000
                                        ; implicit-def: $vgpr0_vgpr1
	v_cmp_ngt_f32_e32 vcc, s28, v16
	buffer_store_dword v0, off, s[0:3], s32 offset:392 ; 4-byte Folded Spill
	s_nop 0
	buffer_store_dword v1, off, s[0:3], s32 offset:396 ; 4-byte Folded Spill
	buffer_store_dword v2, off, s[0:3], s32 offset:400 ; 4-byte Folded Spill
	;; [unrolled: 1-line block ×6, first 2 shown]
                                        ; implicit-def: $vgpr0
	s_and_saveexec_b64 s[28:29], vcc
	s_xor_b64 s[28:29], exec, s[28:29]
	s_cbranch_execz .LBB0_362
; %bb.361:
	s_mov_b32 s36, 0xc5c528bb
	v_div_scale_f32 v0, vcc, v16, v16, s36
	v_rcp_f32_e32 v1, v0
	s_mov_b32 s37, 0xc4251610
	s_mov_b32 s30, 0xba026eca
	;; [unrolled: 1-line block ×3, first 2 shown]
	v_fma_f32 v5, -v0, v1, 1.0
	v_fmac_f32_e32 v1, v5, v1
	v_div_scale_f32 v5, vcc, s36, v16, s36
	v_mul_f32_e32 v7, v5, v1
	v_fma_f32 v8, -v0, v7, v5
	v_fmac_f32_e32 v7, v8, v1
	v_fma_f32 v0, -v0, v7, v5
	v_div_scale_f32 v5, s[34:35], v16, v16, s37
	v_rcp_f32_e32 v8, v5
	v_div_fmas_f32 v0, v0, v1, v7
	v_div_fixup_f32 v1, v0, v16, s36
	s_mov_b32 s34, 0xbe42ba39
	v_fma_f32 v0, -v5, v8, 1.0
	v_fmac_f32_e32 v8, v0, v8
	v_div_scale_f32 v0, vcc, s37, v16, s37
	v_mul_f32_e32 v7, v0, v8
	v_fma_f32 v9, -v5, v7, v0
	v_fmac_f32_e32 v7, v9, v8
	v_fma_f32 v0, -v5, v7, v0
	s_mov_b32 s35, 0xbfe46a42
	v_div_fmas_f32 v0, v0, v8, v7
	v_pk_add_f32 v[8:9], v[16:17], s[34:35] op_sel_hi:[0,1]
	v_mov_b32_e32 v10, 0xbd4d2e47
	v_mov_b32_e32 v11, 0xbf047292
	s_mov_b32 s34, 0x3fe46a42
	v_pk_fma_f32 v[10:11], v[16:17], s[30:31], v[10:11] op_sel_hi:[0,1,1]
	s_mov_b32 s30, 0x3fa7ce91
	v_div_scale_f32 v5, vcc, v9, v9, s34
	s_mov_b32 s31, 0x4135e7dc
	v_rcp_f32_e32 v7, v5
	v_pk_fma_f32 v[10:11], v[16:17], v[10:11], s[30:31] op_sel_hi:[0,1,1]
	s_mov_b32 s30, 0xc196ab4c
	s_mov_b32 s31, 0xc3256d28
	v_div_fixup_f32 v0, v0, v16, s37
	v_pk_fma_f32 v[10:11], v[16:17], v[10:11], s[30:31] op_sel_hi:[0,1,1]
	v_pk_fma_f32 v[0:1], v[16:17], v[10:11], v[0:1] op_sel_hi:[0,1,1]
	v_fma_f32 v10, -v5, v7, 1.0
	v_fmac_f32_e32 v7, v10, v7
	v_div_scale_f32 v10, vcc, s34, v9, s34
	v_mul_f32_e32 v11, v10, v7
	s_mov_b32 s30, 0x4324ee74
	v_fma_f32 v12, -v5, v11, v10
	s_mov_b32 s31, 0x44be4a2a
	v_fmac_f32_e32 v11, v12, v7
	s_mov_b32 s35, 0x3e42ba39
	v_pk_add_f32 v[0:1], v[0:1], s[30:31]
	v_fma_f32 v5, -v5, v11, v10
	v_div_scale_f32 v10, s[30:31], v8, v8, s35
	v_rcp_f32_e32 v12, v10
	v_div_fmas_f32 v5, v5, v7, v11
	v_div_fixup_f32 v9, v5, v9, s34
	s_mov_b32 s30, 0xc663b5e1
	v_fma_f32 v5, -v10, v12, 1.0
	v_fmac_f32_e32 v12, v5, v12
	v_div_scale_f32 v5, vcc, s35, v8, s35
	v_mul_f32_e32 v7, v5, v12
	v_fma_f32 v11, -v10, v7, v5
	v_fmac_f32_e32 v7, v11, v12
	v_fma_f32 v5, -v10, v7, v5
	v_div_fmas_f32 v5, v5, v12, v7
	v_div_fixup_f32 v8, v5, v8, s35
	v_pk_fma_f32 v[0:1], v[4:5], v[0:1], v[8:9] op_sel_hi:[0,1,1]
	buffer_store_dword v0, off, s[0:3], s32 offset:392 ; 4-byte Folded Spill
	s_nop 0
	buffer_store_dword v1, off, s[0:3], s32 offset:396 ; 4-byte Folded Spill
	buffer_store_dword v2, off, s[0:3], s32 offset:400 ; 4-byte Folded Spill
	;; [unrolled: 1-line block ×6, first 2 shown]
	v_div_scale_f32 v5, vcc, v16, v16, s30
	v_rcp_f32_e32 v7, v5
	v_mov_b32_e32 v0, 0xbfe2ef83
	v_fmac_f32_e32 v0, 0xbc62b400, v16
	v_mov_b32_e32 v1, 0x418ae947
	v_fmac_f32_e32 v1, v16, v0
	;; [unrolled: 2-line block ×3, first 2 shown]
	v_fma_f32 v1, -v5, v7, 1.0
	v_fmac_f32_e32 v7, v1, v7
	v_div_scale_f32 v1, vcc, s30, v16, s30
	v_mul_f32_e32 v8, v1, v7
	v_fma_f32 v9, -v5, v8, v1
	v_fmac_f32_e32 v8, v9, v7
	v_fma_f32 v1, -v5, v8, v1
	v_div_fmas_f32 v1, v1, v7, v8
	v_div_fixup_f32 v1, v1, v16, s30
	v_fmac_f32_e32 v1, v16, v0
	v_add_f32_e32 v0, 0x4528a517, v1
.LBB0_362:
	s_andn2_saveexec_b64 s[28:29], s[28:29]
	s_cbranch_execz .LBB0_364
; %bb.363:
	v_mov_b32_e32 v0, 0x39bba4b6
	v_fmac_f32_e32 v0, 0xb62341a3, v16
	v_mov_b32_e32 v1, 0xbcbfc8ef
	s_mov_b32 s30, 0xbe42ba39
	v_fmac_f32_e32 v1, v16, v0
	s_mov_b32 s31, 0xbfe46a42
	v_mul_f32_e32 v8, v16, v1
	v_pk_add_f32 v[0:1], v[16:17], s[30:31] op_sel_hi:[0,1]
	s_mov_b32 s30, 0xca32054d
	v_div_scale_f32 v5, vcc, v16, v16, s30
	v_rcp_f32_e32 v7, v5
	s_mov_b32 s36, 0x469a624f
	v_mov_b32_e32 v9, 0x3d0f0702
	v_fmac_f32_e32 v9, 0xb989b133, v16
	v_fma_f32 v10, -v5, v7, 1.0
	v_fmac_f32_e32 v7, v10, v7
	v_div_scale_f32 v10, vcc, s30, v16, s30
	v_mul_f32_e32 v11, v10, v7
	v_fma_f32 v12, -v5, v11, v10
	v_fmac_f32_e32 v11, v12, v7
	v_fma_f32 v5, -v5, v11, v10
	v_div_fmas_f32 v5, v5, v7, v11
	v_div_fixup_f32 v5, v5, v16, s30
	v_add_f32_e32 v5, 0x49ac46f8, v5
	v_div_scale_f32 v7, vcc, v16, v16, v5
	v_rcp_f32_e32 v10, v7
	s_mov_b32 s30, 0x3f480b7a
	v_mul_f32_e32 v9, v16, v9
	s_mov_b32 s31, 0xc045f9e0
	v_fma_f32 v11, -v7, v10, 1.0
	v_fmac_f32_e32 v10, v11, v10
	v_div_scale_f32 v11, vcc, v5, v16, v5
	v_mul_f32_e32 v12, v11, v10
	v_fma_f32 v13, -v7, v12, v11
	v_fmac_f32_e32 v12, v13, v10
	v_div_scale_f32 v13, s[34:35], v16, v16, s36
	v_rcp_f32_e32 v14, v13
	v_fma_f32 v7, -v7, v12, v11
	v_div_fmas_f32 v7, v7, v10, v12
	v_div_fixup_f32 v11, v7, v16, v5
	v_fma_f32 v5, -v13, v14, 1.0
	v_fmac_f32_e32 v14, v5, v14
	v_div_scale_f32 v5, vcc, s36, v16, s36
	v_mul_f32_e32 v7, v5, v14
	v_fma_f32 v10, -v13, v7, v5
	v_fmac_f32_e32 v7, v10, v14
	v_fma_f32 v5, -v13, v7, v5
	v_div_fmas_f32 v5, v5, v14, v7
	v_div_fixup_f32 v10, v5, v16, s36
	s_mov_b32 s35, 0xc88e598b
	v_pk_add_f32 v[8:9], v[8:9], s[30:31]
	s_mov_b32 s30, 0xc18a913f
	v_pk_add_f32 v[12:13], v[10:11], s[34:35]
	s_mov_b32 s31, 0x42d61304
	v_div_scale_f32 v5, vcc, v16, v16, v13
	v_pk_fma_f32 v[8:9], v[16:17], v[8:9], s[30:31] op_sel_hi:[0,1,1]
	s_mov_b32 s30, 0x43738477
	v_rcp_f32_e32 v7, v5
	s_mov_b32 s31, 0xc513e98b
	v_pk_fma_f32 v[8:9], v[16:17], v[8:9], s[30:31] op_sel_hi:[0,1,1]
	s_mov_b32 s30, 0x461981a8
	v_pk_add_f32 v[10:11], v[10:11], s[30:31] neg_lo:[1,0] neg_hi:[1,0]
	v_fma_f32 v11, -v5, v7, 1.0
	v_fmac_f32_e32 v7, v11, v7
	v_div_scale_f32 v11, vcc, v13, v16, v13
	v_mul_f32_e32 v12, v11, v7
	v_fma_f32 v14, -v5, v12, v11
	v_fmac_f32_e32 v12, v14, v7
	v_div_scale_f32 v14, s[30:31], v16, v16, v10
	v_rcp_f32_e32 v15, v14
	v_fma_f32 v5, -v5, v12, v11
	v_div_fmas_f32 v5, v5, v7, v12
	v_div_fixup_f32 v11, v5, v16, v13
	v_fma_f32 v5, -v14, v15, 1.0
	v_fmac_f32_e32 v15, v5, v15
	v_div_scale_f32 v5, vcc, v10, v16, v10
	v_mul_f32_e32 v7, v5, v15
	v_fma_f32 v12, -v14, v7, v5
	v_fmac_f32_e32 v7, v12, v15
	v_fma_f32 v5, -v14, v7, v5
	v_div_fmas_f32 v5, v5, v15, v7
	s_mov_b32 s34, 0x3fe46a42
	v_div_fixup_f32 v10, v5, v16, v10
	v_div_scale_f32 v5, vcc, v1, v1, s34
	v_rcp_f32_e32 v7, v5
	v_pk_fma_f32 v[8:9], v[16:17], v[8:9], v[10:11] op_sel_hi:[0,1,1]
	s_mov_b32 s30, 0xc501fb4f
	s_mov_b32 s31, 0x4702f04a
	v_fma_f32 v10, -v5, v7, 1.0
	v_fmac_f32_e32 v7, v10, v7
	v_div_scale_f32 v10, vcc, s34, v1, s34
	v_mul_f32_e32 v11, v10, v7
	v_fma_f32 v12, -v5, v11, v10
	v_fmac_f32_e32 v11, v12, v7
	s_mov_b32 s35, 0x3e42ba39
	v_pk_add_f32 v[8:9], v[8:9], s[30:31]
	v_fma_f32 v5, -v5, v11, v10
	v_div_scale_f32 v10, s[30:31], v0, v0, s35
	v_rcp_f32_e32 v12, v10
	v_div_fmas_f32 v5, v5, v7, v11
	v_div_fixup_f32 v1, v5, v1, s34
	s_mov_b32 s30, 0xc8396161
	v_fma_f32 v5, -v10, v12, 1.0
	v_fmac_f32_e32 v12, v5, v12
	v_div_scale_f32 v5, vcc, s35, v0, s35
	v_mul_f32_e32 v7, v5, v12
	v_fma_f32 v11, -v10, v7, v5
	v_fmac_f32_e32 v7, v11, v12
	v_fma_f32 v5, -v10, v7, v5
	v_div_fmas_f32 v5, v5, v12, v7
	v_div_fixup_f32 v0, v5, v0, s35
	v_pk_fma_f32 v[0:1], v[4:5], v[8:9], v[0:1] op_sel_hi:[0,1,1]
	buffer_store_dword v0, off, s[0:3], s32 offset:392 ; 4-byte Folded Spill
	s_nop 0
	buffer_store_dword v1, off, s[0:3], s32 offset:396 ; 4-byte Folded Spill
	buffer_store_dword v2, off, s[0:3], s32 offset:400 ; 4-byte Folded Spill
	;; [unrolled: 1-line block ×6, first 2 shown]
	v_div_scale_f32 v1, vcc, v16, v16, s30
	v_rcp_f32_e32 v5, v1
	v_mov_b32_e32 v0, 0xbceb226e
	v_fmac_f32_e32 v0, 0x38c36ca9, v16
	v_mov_b32_e32 v7, 0xbf4893b3
	v_fma_f32 v8, -v1, v5, 1.0
	v_fmac_f32_e32 v5, v8, v5
	v_div_scale_f32 v8, vcc, s30, v16, s30
	v_mul_f32_e32 v9, v8, v5
	v_fma_f32 v10, -v1, v9, v8
	v_fmac_f32_e32 v9, v10, v5
	v_fma_f32 v1, -v1, v9, v8
	v_div_fmas_f32 v1, v1, v5, v9
	v_div_fixup_f32 v1, v1, v16, s30
	v_add_f32_e32 v1, 0x4747cdd7, v1
	v_div_scale_f32 v5, vcc, v16, v16, v1
	v_rcp_f32_e32 v8, v5
	v_fmac_f32_e32 v7, v16, v0
	v_mov_b32_e32 v0, 0xc193789b
	v_fmac_f32_e32 v0, v16, v7
	v_mov_b32_e32 v7, 0x43ca7f94
	v_fmac_f32_e32 v7, v16, v0
	v_fma_f32 v0, -v5, v8, 1.0
	v_fmac_f32_e32 v8, v0, v8
	v_div_scale_f32 v0, vcc, v1, v16, v1
	v_mul_f32_e32 v9, v0, v8
	v_fma_f32 v10, -v5, v9, v0
	v_fmac_f32_e32 v9, v10, v8
	v_fma_f32 v0, -v5, v9, v0
	v_div_fmas_f32 v0, v0, v8, v9
	v_div_fixup_f32 v0, v0, v16, v1
	v_fmac_f32_e32 v0, v16, v7
	v_add_f32_e32 v0, 0xc5d70baa, v0
.LBB0_364:
	s_or_b64 exec, exec, s[28:29]
	v_fma_f32 v1, 2.0, v6, v6
	v_sub_f32_e32 v1, v1, v4
	v_div_scale_f32 v5, s[28:29], v3, v3, v1
	v_rcp_f32_e32 v7, v5
	v_div_scale_f32 v8, vcc, v1, v3, v1
	s_mov_b32 s30, 0x40b0cf9e
	v_fma_f32 v9, -v5, v7, 1.0
	v_fmac_f32_e32 v7, v9, v7
	v_mul_f32_e32 v9, v8, v7
	v_fma_f32 v10, -v5, v9, v8
	v_fmac_f32_e32 v9, v10, v7
	v_fma_f32 v5, -v5, v9, v8
	v_add_f32_e32 v8, 0xc0b0cf9e, v16
	buffer_load_dword v12, off, s[0:3], s32 offset:392 ; 4-byte Folded Reload
	buffer_load_dword v13, off, s[0:3], s32 offset:396 ; 4-byte Folded Reload
	;; [unrolled: 1-line block ×7, first 2 shown]
	v_div_scale_f32 v10, s[28:29], v8, v8, s30
	v_rcp_f32_e32 v11, v10
	v_div_fmas_f32 v5, v5, v7, v9
	v_div_fixup_f32 v7, v5, v3, v1
	v_fma_f32 v1, -v10, v11, 1.0
	v_fmac_f32_e32 v11, v1, v11
	v_div_scale_f32 v1, vcc, s30, v8, s30
	v_mul_f32_e32 v3, v1, v11
	v_fma_f32 v5, -v10, v3, v1
	v_fmac_f32_e32 v3, v5, v11
	v_fma_f32 v1, -v10, v3, v1
	v_div_fmas_f32 v1, v1, v11, v3
	v_div_fixup_f32 v5, v1, v8, s30
	v_fmac_f32_e32 v5, v4, v0
	s_waitcnt vmcnt(3)
	v_pk_mov_b32 v[14:15], v[12:13], v[12:13] op_sel:[0,1]
	v_add_f32_e32 v9, 1.0, v14
	v_div_scale_f32 v10, s[28:29], v9, v9, v14
	v_rcp_f32_e32 v12, v10
	v_mov_b32_e32 v4, v15
	v_fma_f32 v0, -v10, v12, 1.0
	v_fmac_f32_e32 v12, v0, v12
	v_div_scale_f32 v0, vcc, v14, v9, v14
	v_mul_f32_e32 v3, v0, v12
	v_fma_f32 v1, -v10, v3, v0
	v_fmac_f32_e32 v3, v1, v12
	v_fma_f32 v8, -v10, v3, v0
	v_pk_add_f32 v[0:1], v[4:5], 1.0 op_sel_hi:[1,0]
	v_div_scale_f32 v4, s[28:29], v1, v1, v5
	v_rcp_f32_e32 v10, v4
	v_div_fmas_f32 v3, v8, v12, v3
	v_div_fixup_f32 v9, v3, v9, v14
	v_fma_f32 v3, -v4, v10, 1.0
	v_fmac_f32_e32 v10, v3, v10
	v_div_scale_f32 v3, vcc, v5, v1, v5
	v_mul_f32_e32 v8, v3, v10
	v_fma_f32 v11, -v4, v8, v3
	v_fmac_f32_e32 v8, v11, v10
	v_fma_f32 v3, -v4, v8, v3
	v_div_scale_f32 v4, s[28:29], v0, v0, v15
	v_rcp_f32_e32 v11, v4
	v_div_fmas_f32 v3, v3, v10, v8
	v_div_fixup_f32 v1, v3, v1, v5
	v_fma_f32 v3, -v4, v11, 1.0
	v_fmac_f32_e32 v11, v3, v11
	v_div_scale_f32 v3, vcc, v15, v0, v15
	v_mul_f32_e32 v8, v3, v11
	v_fma_f32 v10, -v4, v8, v3
	v_fmac_f32_e32 v8, v10, v11
	v_fma_f32 v3, -v4, v8, v3
	v_div_fmas_f32 v3, v3, v11, v8
	v_mul_f32_e32 v8, v2, v9
	v_pk_add_f32 v[10:11], v[6:7], v[8:9] op_sel_hi:[0,1] neg_lo:[0,1] neg_hi:[0,1]
	v_pk_mul_f32 v[12:13], v[6:7], v[8:9] op_sel_hi:[0,1]
	v_div_fixup_f32 v0, v3, v0, v15
	v_mov_b32_e32 v12, v10
	v_mov_b32_e32 v4, v1
	;; [unrolled: 1-line block ×3, first 2 shown]
	v_pk_mul_f32 v[14:15], v[0:1], v[10:11]
	s_waitcnt vmcnt(1)
	v_pk_add_f32 v[16:17], v[4:5], v[0:1] op_sel_hi:[0,1] neg_lo:[0,1] neg_hi:[0,1]
	v_pk_mul_f32 v[10:11], v[4:5], v[10:11] op_sel_hi:[0,1]
	v_pk_add_f32 v[6:7], v[6:7], v[12:13] neg_lo:[0,1] neg_hi:[0,1]
	v_mov_b32_e32 v4, v9
	v_mov_b32_e32 v11, v7
	;; [unrolled: 1-line block ×4, first 2 shown]
	v_pk_add_f32 v[0:1], v[0:1], v[4:5] op_sel_hi:[1,0] neg_lo:[0,1] neg_hi:[0,1]
	v_pk_add_f32 v[6:7], v[10:11], v[6:7] neg_lo:[0,1] neg_hi:[0,1]
	v_pk_mul_f32 v[0:1], v[16:17], v[0:1] op_sel_hi:[0,1]
	v_div_scale_f32 v3, s[28:29], v1, v1, v7
	v_rcp_f32_e32 v4, v3
	v_fma_f32 v8, -v3, v4, 1.0
	v_fmac_f32_e32 v4, v8, v4
	v_div_scale_f32 v8, vcc, v7, v1, v7
	v_mul_f32_e32 v9, v8, v4
	v_fma_f32 v10, -v3, v9, v8
	v_fmac_f32_e32 v9, v10, v4
	v_fma_f32 v3, -v3, v9, v8
	v_div_scale_f32 v8, s[28:29], v0, v0, v6
	v_rcp_f32_e32 v10, v8
	v_div_fmas_f32 v3, v3, v4, v9
	v_div_fixup_f32 v21, v3, v1, v7
	v_fma_f32 v1, -v8, v10, 1.0
	v_fmac_f32_e32 v10, v1, v10
	v_div_scale_f32 v1, vcc, v6, v0, v6
	v_mul_f32_e32 v3, v1, v10
	v_fma_f32 v4, -v8, v3, v1
	v_fmac_f32_e32 v3, v4, v10
	v_fma_f32 v1, -v8, v3, v1
	v_div_fmas_f32 v1, v1, v10, v3
	v_div_fixup_f32 v20, v1, v0, v6
	v_sub_f32_e32 v0, v2, v20
	v_sub_f32_e32 v2, v0, v21
.LBB0_365:
	s_or_b64 exec, exec, s[26:27]
                                        ; implicit-def: $vgpr16
                                        ; implicit-def: $vgpr4
                                        ; implicit-def: $vgpr6
.LBB0_366:
	s_andn2_saveexec_b64 s[24:25], s[24:25]
	s_cbranch_execz .LBB0_368
; %bb.367:
	s_mov_b32 s28, 0xc307d4bd
	v_div_scale_f32 v0, s[26:27], v16, v16, s28
	v_rcp_f32_e32 v1, v0
	s_mov_b32 s29, 0xc23e4bfd
	v_mov_b32_e32 v8, 0x39388d8e
	v_fmac_f32_e32 v8, 0xb59a3989, v16
	v_fma_f32 v3, -v0, v1, 1.0
	v_fmac_f32_e32 v1, v3, v1
	v_div_scale_f32 v3, vcc, s28, v16, s28
	v_mul_f32_e32 v5, v3, v1
	v_fma_f32 v7, -v0, v5, v3
	v_fmac_f32_e32 v5, v7, v1
	v_fma_f32 v0, -v0, v5, v3
	v_div_scale_f32 v3, s[26:27], v16, v16, s29
	v_rcp_f32_e32 v7, v3
	v_div_fmas_f32 v0, v0, v1, v5
	v_div_fixup_f32 v11, v0, v16, s28
	s_mov_b32 s26, 0xbe8cee3d
	v_fma_f32 v0, -v3, v7, 1.0
	v_fmac_f32_e32 v7, v0, v7
	v_div_scale_f32 v0, vcc, s29, v16, s29
	v_mul_f32_e32 v1, v0, v7
	v_fma_f32 v5, -v3, v1, v0
	v_fmac_f32_e32 v1, v5, v7
	v_fma_f32 v0, -v3, v1, v0
	v_div_fmas_f32 v0, v0, v7, v1
	s_mov_b32 s27, 0xc02e6238
	v_div_fixup_f32 v10, v0, v16, s29
	v_pk_add_f32 v[0:1], v[16:17], s[26:27] op_sel_hi:[0,1]
	s_mov_b32 s26, 0xbc8ce3aa
	v_mov_b32_e32 v9, 0x39bf52f4
	s_mov_b32 s27, 0xbdc708fb
	v_pk_fma_f32 v[8:9], v[16:17], v[8:9], s[26:27] op_sel_hi:[0,1,1]
	s_mov_b32 s26, 0x41135c5f
	s_mov_b32 s27, 0xc2ad60db
	v_pk_add_f32 v[10:11], v[10:11], s[26:27]
	v_div_scale_f32 v3, s[26:27], v16, v16, v11
	v_rcp_f32_e32 v5, v3
	s_mov_b32 s26, 0xbe0c9671
	s_mov_b32 s27, 0xc080ec6f
	v_pk_fma_f32 v[8:9], v[16:17], v[8:9], s[26:27] op_sel_hi:[0,1,1]
	v_fma_f32 v7, -v3, v5, 1.0
	v_fmac_f32_e32 v5, v7, v5
	v_div_scale_f32 v7, vcc, v11, v16, v11
	v_mul_f32_e32 v12, v7, v5
	v_fma_f32 v13, -v3, v12, v7
	v_fmac_f32_e32 v12, v13, v5
	v_fma_f32 v3, -v3, v12, v7
	v_div_scale_f32 v7, s[26:27], v16, v16, v10
	v_rcp_f32_e32 v13, v7
	v_div_fmas_f32 v3, v3, v5, v12
	v_div_fixup_f32 v11, v3, v16, v11
	s_mov_b32 s28, 0x402e6238
	v_fma_f32 v3, -v7, v13, 1.0
	v_fmac_f32_e32 v13, v3, v13
	v_div_scale_f32 v3, vcc, v10, v16, v10
	v_mul_f32_e32 v5, v3, v13
	v_fma_f32 v12, -v7, v5, v3
	v_fmac_f32_e32 v5, v12, v13
	v_fma_f32 v3, -v7, v5, v3
	v_div_fmas_f32 v3, v3, v13, v5
	v_div_fixup_f32 v10, v3, v16, v10
	v_div_scale_f32 v3, s[26:27], v1, v1, s28
	v_rcp_f32_e32 v5, v3
	v_pk_fma_f32 v[8:9], v[16:17], v[8:9], v[10:11] op_sel_hi:[0,1,1]
	s_mov_b32 s26, 0xbcbd4d2c
	s_mov_b32 s27, 0x403eba2b
	v_fma_f32 v7, -v3, v5, 1.0
	v_fmac_f32_e32 v5, v7, v5
	v_div_scale_f32 v7, vcc, s28, v1, s28
	v_mul_f32_e32 v10, v7, v5
	v_fma_f32 v11, -v3, v10, v7
	v_fmac_f32_e32 v10, v11, v5
	s_mov_b32 s29, 0x3e8cee3d
	v_pk_add_f32 v[8:9], v[8:9], s[26:27]
	v_fma_f32 v3, -v3, v10, v7
	v_div_scale_f32 v7, s[26:27], v0, v0, s29
	v_rcp_f32_e32 v11, v7
	v_div_fmas_f32 v3, v3, v5, v10
	v_div_fixup_f32 v1, v3, v1, s28
	v_mov_b32_e32 v21, 0
	v_fma_f32 v3, -v7, v11, 1.0
	v_fmac_f32_e32 v11, v3, v11
	v_div_scale_f32 v3, vcc, s29, v0, s29
	v_mul_f32_e32 v5, v3, v11
	v_fma_f32 v10, -v7, v5, v3
	v_fmac_f32_e32 v5, v10, v11
	v_fma_f32 v3, -v7, v5, v3
	v_div_fmas_f32 v3, v3, v11, v5
	v_div_fixup_f32 v0, v3, v0, s29
	v_pk_fma_f32 v[8:9], v[4:5], v[8:9], v[0:1] op_sel_hi:[0,1,1]
	v_sub_f32_e32 v0, v6, v2
	v_fmac_f32_e32 v6, v0, v8
	v_add_f32_e32 v0, 1.0, v9
	v_pk_mov_b32 v[4:5], v[8:9], v[8:9] op_sel:[0,1]
	v_mul_f32_e32 v0, v0, v6
	buffer_store_dword v4, off, s[0:3], s32 offset:392 ; 4-byte Folded Spill
	s_nop 0
	buffer_store_dword v5, off, s[0:3], s32 offset:396 ; 4-byte Folded Spill
	buffer_store_dword v6, off, s[0:3], s32 offset:400 ; 4-byte Folded Spill
	buffer_store_dword v7, off, s[0:3], s32 offset:404 ; 4-byte Folded Spill
	buffer_store_dword v8, off, s[0:3], s32 offset:408 ; 4-byte Folded Spill
	buffer_store_dword v9, off, s[0:3], s32 offset:412 ; 4-byte Folded Spill
	buffer_store_dword v10, off, s[0:3], s32 offset:416 ; 4-byte Folded Spill
	v_sub_f32_e32 v1, v9, v8
	v_div_scale_f32 v3, s[26:27], v1, v1, v0
	v_rcp_f32_e32 v4, v3
	v_fma_f32 v5, -v3, v4, 1.0
	v_fmac_f32_e32 v4, v5, v4
	v_div_scale_f32 v5, vcc, v0, v1, v0
	v_mul_f32_e32 v6, v5, v4
	v_fma_f32 v7, -v3, v6, v5
	v_fmac_f32_e32 v6, v7, v4
	v_fma_f32 v3, -v3, v6, v5
	v_div_fmas_f32 v3, v3, v4, v6
	v_div_fixup_f32 v20, v3, v1, v0
	v_sub_f32_e32 v2, v2, v20
	v_mov_b32_e32 v5, 0
.LBB0_368:
	s_or_b64 exec, exec, s[24:25]
                                        ; implicit-def: $vgpr6
.LBB0_369:
	s_andn2_saveexec_b64 s[4:5], s[4:5]
	s_cbranch_execz .LBB0_373
; %bb.370:
	s_mov_b32 s24, 0
	v_accvgpr_read_b32 v0, a16
	s_mov_b32 s25, s24
	v_cmp_eq_u32_e32 vcc, 0, v0
	v_pk_mov_b32 v[0:1], s[24:25], s[24:25] op_sel:[0,1]
	buffer_store_dword v0, off, s[0:3], s32 offset:392 ; 4-byte Folded Spill
	s_nop 0
	buffer_store_dword v1, off, s[0:3], s32 offset:396 ; 4-byte Folded Spill
	buffer_store_dword v2, off, s[0:3], s32 offset:400 ; 4-byte Folded Spill
	;; [unrolled: 1-line block ×6, first 2 shown]
	s_and_saveexec_b64 s[24:25], vcc
	s_cbranch_execz .LBB0_372
; %bb.371:
	v_sub_f32_e32 v0, v2, v6
	v_div_scale_f32 v1, s[26:27], v0, v0, v6
	v_rcp_f32_e32 v3, v1
	v_div_scale_f32 v4, vcc, v6, v0, v6
	v_fma_f32 v5, -v1, v3, 1.0
	v_fmac_f32_e32 v3, v5, v3
	v_mul_f32_e32 v5, v4, v3
	v_fma_f32 v7, -v1, v5, v4
	v_fmac_f32_e32 v5, v7, v3
	v_fma_f32 v1, -v1, v5, v4
	v_div_fmas_f32 v1, v1, v3, v5
	v_div_fixup_f32 v0, v1, v0, v6
	v_mov_b32_e32 v1, 0
	buffer_store_dword v0, off, s[0:3], s32 offset:392 ; 4-byte Folded Spill
	s_nop 0
	buffer_store_dword v1, off, s[0:3], s32 offset:396 ; 4-byte Folded Spill
	buffer_store_dword v2, off, s[0:3], s32 offset:400 ; 4-byte Folded Spill
	;; [unrolled: 1-line block ×6, first 2 shown]
.LBB0_372:
	s_or_b64 exec, exec, s[24:25]
	v_mov_b32_e32 v21, 0
	v_mov_b32_e32 v20, 0
	;; [unrolled: 1-line block ×3, first 2 shown]
.LBB0_373:
	s_or_b64 exec, exec, s[4:5]
.LBB0_374:
	s_or_b64 exec, exec, s[22:23]
                                        ; implicit-def: $vgpr16
.LBB0_375:
	s_andn2_saveexec_b64 s[20:21], s[20:21]
	s_cbranch_execz .LBB0_389
; %bb.376:
	v_mul_f32_e32 v0, 0xbfb8aa3b, v16
	s_mov_b32 s4, 0xbfb8aa3b
	v_rndne_f32_e32 v1, v0
	s_mov_b32 s22, 0xbe405aee
	v_sub_f32_e32 v2, v0, v1
	v_fma_f32 v0, v16, s4, -v0
	v_div_scale_f32 v3, s[4:5], v16, v16, s22
	v_rcp_f32_e32 v4, v3
	v_fmac_f32_e32 v0, 0xb2a5705f, v16
	v_add_f32_e32 v0, v2, v0
	v_exp_f32_e32 v0, v0
	v_fma_f32 v2, -v3, v4, 1.0
	v_fmac_f32_e32 v4, v2, v4
	v_div_scale_f32 v2, vcc, s22, v16, s22
	v_mul_f32_e32 v5, v2, v4
	v_fma_f32 v6, -v3, v5, v2
	v_fmac_f32_e32 v5, v6, v4
	v_fma_f32 v2, -v3, v5, v2
	v_div_fmas_f32 v2, v2, v4, v5
	v_div_fixup_f32 v2, v2, v16, s22
	v_add_f32_e32 v2, 0x3e6b6fc1, v2
	v_div_scale_f32 v3, s[4:5], v16, v16, v2
	v_cvt_i32_f32_e32 v1, v1
	v_rcp_f32_e32 v4, v3
	s_mov_b32 s22, 0x42ce8ed0
	s_mov_b32 s23, 0x3f490fdb
	v_ldexp_f32 v0, v0, v1
	v_fma_f32 v1, -v3, v4, 1.0
	v_fmac_f32_e32 v4, v1, v4
	v_div_scale_f32 v1, vcc, v2, v16, v2
	v_mul_f32_e32 v5, v1, v4
	v_fma_f32 v6, -v3, v5, v1
	v_fmac_f32_e32 v5, v6, v4
	v_fma_f32 v1, -v3, v5, v1
	v_div_fmas_f32 v1, v1, v4, v5
	v_div_fixup_f32 v1, v1, v16, v2
	v_add_f32_e32 v1, 0xbeff74bd, v1
	v_div_scale_f32 v2, s[4:5], v16, v16, v1
	v_rcp_f32_e32 v3, v2
	v_cmp_nlt_f32_e32 vcc, s22, v16
	v_cndmask_b32_e32 v0, 0, v0, vcc
	s_mov_b32 s22, 0xc2b17218
	v_fma_f32 v5, -v2, v3, 1.0
	v_fmac_f32_e32 v3, v5, v3
	v_div_scale_f32 v5, vcc, v1, v16, v1
	v_mul_f32_e32 v6, v5, v3
	v_fma_f32 v7, -v2, v6, v5
	v_fmac_f32_e32 v6, v7, v3
	v_div_scale_f32 v7, s[4:5], v16, v16, s23
	v_rcp_f32_e32 v8, v7
	v_fma_f32 v2, -v2, v6, v5
	v_div_fmas_f32 v2, v2, v3, v6
	s_mov_b32 s4, 0xf800000
	v_fma_f32 v3, -v7, v8, 1.0
	v_fmac_f32_e32 v8, v3, v8
	v_div_scale_f32 v3, vcc, s23, v16, s23
	v_mul_f32_e32 v5, v3, v8
	v_fma_f32 v6, -v7, v5, v3
	v_fmac_f32_e32 v5, v6, v8
	v_fma_f32 v3, -v7, v5, v3
	v_div_fmas_f32 v3, v3, v8, v5
	v_div_fixup_f32 v3, v3, v16, s23
	v_mul_f32_e32 v5, 0x4f800000, v3
	v_cmp_gt_f32_e32 vcc, s4, v3
	v_cndmask_b32_e32 v3, v3, v5, vcc
	v_sqrt_f32_e32 v5, v3
	v_mov_b32_e32 v4, 0x7f800000
	v_cmp_ngt_f32_e64 s[4:5], s22, v16
	v_cndmask_b32_e64 v4, v4, v0, s[4:5]
	v_div_fixup_f32 v0, v2, v16, v1
	v_add_u32_e32 v1, -1, v5
	v_fma_f32 v2, -v1, v5, v3
	v_cmp_ge_f32_e64 s[4:5], 0, v2
	v_add_u32_e32 v2, 1, v5
	v_cndmask_b32_e64 v1, v5, v1, s[4:5]
	v_fma_f32 v5, -v2, v5, v3
	v_cmp_lt_f32_e64 s[4:5], 0, v5
	v_cndmask_b32_e64 v1, v1, v2, s[4:5]
	v_mul_f32_e32 v2, 0x37800000, v1
	v_cndmask_b32_e32 v1, v1, v2, vcc
	v_mov_b32_e32 v2, 0x260
	v_cmp_class_f32_e32 vcc, v3, v2
	v_add_f32_e32 v0, 0xb7b7d95a, v0
	v_cndmask_b32_e32 v2, v1, v3, vcc
	v_fmac_f32_e32 v2, v4, v0
	v_sub_f32_e32 v1, v2, v4
	v_add_f32_e32 v0, v16, v16
	v_div_scale_f32 v3, s[4:5], v0, v0, v1
	v_rcp_f32_e32 v5, v3
                                        ; implicit-def: $vgpr21
	v_fma_f32 v6, -v3, v5, 1.0
	v_fmac_f32_e32 v5, v6, v5
	v_div_scale_f32 v6, vcc, v1, v0, v1
	v_mul_f32_e32 v7, v6, v5
	v_fma_f32 v8, -v3, v7, v6
	v_fmac_f32_e32 v7, v8, v5
	v_fma_f32 v3, -v3, v7, v6
	v_div_fmas_f32 v3, v3, v5, v7
	v_div_fixup_f32 v7, v3, v0, v1
	v_accvgpr_read_b32 v1, a16
	v_cmp_lt_i32_e32 vcc, 0, v1
                                        ; implicit-def: $vgpr8_vgpr9
	buffer_store_dword v8, off, s[0:3], s32 offset:392 ; 4-byte Folded Spill
	s_nop 0
	buffer_store_dword v9, off, s[0:3], s32 offset:396 ; 4-byte Folded Spill
	buffer_store_dword v10, off, s[0:3], s32 offset:400 ; 4-byte Folded Spill
	;; [unrolled: 1-line block ×6, first 2 shown]
                                        ; implicit-def: $vgpr5
	s_and_saveexec_b64 s[4:5], vcc
	s_xor_b64 s[4:5], exec, s[4:5]
	s_cbranch_execz .LBB0_384
; %bb.377:
	v_accvgpr_read_b32 v1, a16
	v_cmp_lt_i32_e32 vcc, 1, v1
                                        ; implicit-def: $vgpr8_vgpr9
	buffer_store_dword v8, off, s[0:3], s32 offset:392 ; 4-byte Folded Spill
	s_nop 0
	buffer_store_dword v9, off, s[0:3], s32 offset:396 ; 4-byte Folded Spill
	buffer_store_dword v10, off, s[0:3], s32 offset:400 ; 4-byte Folded Spill
	;; [unrolled: 1-line block ×6, first 2 shown]
                                        ; implicit-def: $vgpr21
                                        ; implicit-def: $vgpr5
	s_and_saveexec_b64 s[22:23], vcc
	s_xor_b64 s[22:23], exec, s[22:23]
	s_cbranch_execz .LBB0_381
; %bb.378:
	s_mov_b32 s24, 0
	v_accvgpr_read_b32 v1, a16
	s_mov_b32 s25, s24
	v_cmp_eq_u32_e32 vcc, 2, v1
	v_pk_mov_b32 v[8:9], s[24:25], s[24:25] op_sel:[0,1]
	v_mov_b32_e32 v21, 0
	v_mov_b32_e32 v20, 0
	;; [unrolled: 1-line block ×3, first 2 shown]
	buffer_store_dword v8, off, s[0:3], s32 offset:392 ; 4-byte Folded Spill
	s_nop 0
	buffer_store_dword v9, off, s[0:3], s32 offset:396 ; 4-byte Folded Spill
	buffer_store_dword v10, off, s[0:3], s32 offset:400 ; 4-byte Folded Spill
	;; [unrolled: 1-line block ×6, first 2 shown]
	s_and_saveexec_b64 s[24:25], vcc
	s_cbranch_execz .LBB0_380
; %bb.379:
	v_add_f32_e32 v8, 0xc1480000, v16
	v_mov_b32_e32 v10, 0xa747bc7d
	v_mov_b32_e32 v11, 0xa8430508
	s_mov_b32 s26, 0xa937ed9d
	v_fmac_f32_e32 v10, 0x25fedf51, v8
	v_fmac_f32_e32 v11, 0x27f6d9a2, v8
	s_mov_b32 s27, 0xab717b68
	v_pk_fma_f32 v[10:11], v[8:9], v[10:11], s[26:27] op_sel_hi:[0,1,1]
	s_mov_b32 s26, 0x2b176e28
	s_mov_b32 s27, 0x2ce9b5e5
	v_pk_fma_f32 v[10:11], v[8:9], v[10:11], s[26:27] op_sel_hi:[0,1,1]
	s_mov_b32 s26, 0x2c0470c6
	;; [unrolled: 3-line block ×6, first 2 shown]
	s_mov_b32 s27, 0x362874f9
	v_mov_b32_e32 v1, 0xa8f64f4f
	v_pk_fma_f32 v[10:11], v[8:9], v[10:11], s[26:27] op_sel_hi:[0,1,1]
	s_mov_b32 s26, 0xb68afd6b
	v_fmac_f32_e32 v1, 0x27670864, v8
	v_mov_b32_e32 v3, 0xaab1bb1a
	s_mov_b32 s27, 0xb88b2efe
	v_fmac_f32_e32 v3, v8, v1
	v_mov_b32_e32 v1, 0x2d183ebc
	v_pk_fma_f32 v[10:11], v[8:9], v[10:11], s[26:27] op_sel_hi:[0,1,1]
	s_mov_b32 s26, 0x38a8b361
	v_fmac_f32_e32 v1, v8, v3
	v_mov_b32_e32 v3, 0xae776687
	s_mov_b32 s27, 0x3a92a77e
	v_fmac_f32_e32 v3, v8, v1
	;; [unrolled: 7-line block ×4, first 2 shown]
	v_mov_b32_e32 v1, 0x3883953b
	v_pk_fma_f32 v[14:15], v[8:9], v[10:11], s[26:27] op_sel_hi:[0,1,1]
	v_fmac_f32_e32 v1, v8, v3
	v_mov_b32_e32 v3, 0xba84c991
	v_fmac_f32_e32 v3, v8, v1
	v_add_f32_e32 v1, 1.0, v14
	v_div_scale_f32 v5, s[26:27], v1, v1, v14
	v_rcp_f32_e32 v9, v5
	v_mov_b32_e32 v6, 0x3c3a9de9
	v_fmac_f32_e32 v6, v8, v3
	v_mul_f32_e32 v6, v8, v6
	v_fma_f32 v3, -v5, v9, 1.0
	v_fmac_f32_e32 v9, v3, v9
	v_div_scale_f32 v3, vcc, v14, v1, v14
	v_mul_f32_e32 v10, v3, v9
	v_fma_f32 v11, -v5, v10, v3
	v_fmac_f32_e32 v10, v11, v9
	v_fma_f32 v3, -v5, v10, v3
	v_add_f32_e32 v5, 1.0, v15
	v_div_scale_f32 v11, s[26:27], v5, v5, v15
	v_rcp_f32_e32 v12, v11
	v_div_fmas_f32 v3, v3, v9, v10
	v_div_fixup_f32 v10, v3, v1, v14
	v_mov_b32_e32 v19, v4
	v_fma_f32 v1, -v11, v12, 1.0
	v_fmac_f32_e32 v12, v1, v12
	v_div_scale_f32 v1, vcc, v15, v5, v15
	v_mul_f32_e32 v3, v1, v12
	v_fma_f32 v9, -v11, v3, v1
	v_fmac_f32_e32 v3, v9, v12
	v_fma_f32 v1, -v11, v3, v1
	v_div_fmas_f32 v1, v1, v12, v3
	v_pk_mov_b32 v[12:13], v[14:15], v[14:15] op_sel:[0,1]
	s_waitcnt vmcnt(21)
	buffer_store_dword v12, off, s[0:3], s32 offset:392 ; 4-byte Folded Spill
	s_nop 0
	buffer_store_dword v13, off, s[0:3], s32 offset:396 ; 4-byte Folded Spill
	buffer_store_dword v14, off, s[0:3], s32 offset:400 ; 4-byte Folded Spill
	;; [unrolled: 1-line block ×6, first 2 shown]
	v_mov_b32_e32 v16, 0xbdcfc4d6
	v_mov_b32_e32 v17, v7
	v_pk_add_f32 v[16:17], v[6:7], v[16:17]
	v_mov_b32_e32 v9, v7
	v_mov_b32_e32 v18, 0x3f46f6d6
	v_fma_f32 v14, -v2, v10, v7
	v_div_fixup_f32 v12, v1, v5, v15
	v_pk_fma_f32 v[4:5], v[8:9], v[16:17], v[18:19]
	v_add_f32_e32 v3, 1.0, v4
	v_div_scale_f32 v5, s[26:27], v3, v3, v4
	v_rcp_f32_e32 v8, v5
	v_mul_f32_e32 v15, v7, v10
	v_pk_add_f32 v[6:7], v[6:7], v[16:17]
	v_pk_add_f32 v[6:7], v[6:7], v[18:19] neg_lo:[0,1] neg_hi:[0,1]
	v_fma_f32 v6, -v5, v8, 1.0
	v_fmac_f32_e32 v8, v6, v8
	v_div_scale_f32 v6, vcc, v4, v3, v4
	v_mul_f32_e32 v9, v6, v8
	v_fma_f32 v11, -v5, v9, v6
	v_fmac_f32_e32 v9, v11, v8
	v_div_scale_f32 v11, s[26:27], v0, v0, v7
	v_rcp_f32_e32 v13, v11
	v_fma_f32 v5, -v5, v9, v6
	v_div_fmas_f32 v5, v5, v8, v9
	v_div_fixup_f32 v6, v5, v3, v4
	v_fma_f32 v3, -v11, v13, 1.0
	v_fmac_f32_e32 v13, v3, v13
	v_div_scale_f32 v3, vcc, v7, v0, v7
	v_mul_f32_e32 v5, v3, v13
	v_fma_f32 v8, -v11, v5, v3
	v_fmac_f32_e32 v5, v8, v13
	v_fma_f32 v3, -v11, v5, v3
	v_div_fmas_f32 v3, v3, v13, v5
	v_div_fixup_f32 v7, v3, v0, v7
	v_mul_f32_e32 v1, v12, v14
	v_pk_mul_f32 v[16:17], v[6:7], v[14:15]
	v_pk_add_f32 v[14:15], v[6:7], v[14:15] neg_lo:[0,1] neg_hi:[0,1]
	v_mov_b32_e32 v13, v6
	v_sub_f32_e32 v8, v6, v12
	v_mov_b32_e32 v17, v15
	v_mov_b32_e32 v0, v15
	v_pk_add_f32 v[6:7], v[12:13], v[10:11] op_sel_hi:[1,0] neg_lo:[0,1] neg_hi:[0,1]
	v_pk_add_f32 v[0:1], v[16:17], v[0:1] neg_lo:[0,1] neg_hi:[0,1]
	v_pk_mul_f32 v[6:7], v[8:9], v[6:7] op_sel_hi:[0,1]
	v_div_scale_f32 v3, s[26:27], v7, v7, v1
	v_rcp_f32_e32 v5, v3
	v_fma_f32 v8, -v3, v5, 1.0
	v_fmac_f32_e32 v5, v8, v5
	v_div_scale_f32 v8, vcc, v1, v7, v1
	v_mul_f32_e32 v9, v8, v5
	v_fma_f32 v10, -v3, v9, v8
	v_fmac_f32_e32 v9, v10, v5
	v_fma_f32 v3, -v3, v9, v8
	v_div_scale_f32 v8, s[26:27], v6, v6, v0
	v_rcp_f32_e32 v10, v8
	v_div_fmas_f32 v3, v3, v5, v9
	v_div_fixup_f32 v21, v3, v7, v1
	v_fma_f32 v1, -v8, v10, 1.0
	v_fmac_f32_e32 v10, v1, v10
	v_div_scale_f32 v1, vcc, v0, v6, v0
	v_mul_f32_e32 v3, v1, v10
	v_fma_f32 v5, -v8, v3, v1
	v_fmac_f32_e32 v3, v5, v10
	v_fma_f32 v1, -v8, v3, v1
	v_div_fmas_f32 v1, v1, v10, v3
	v_div_fixup_f32 v20, v1, v6, v0
	v_sub_f32_e32 v0, v2, v20
	v_sub_f32_e32 v2, v0, v21
	v_mov_b32_e32 v5, v4
.LBB0_380:
	s_or_b64 exec, exec, s[24:25]
                                        ; implicit-def: $vgpr16
                                        ; implicit-def: $vgpr4
                                        ; implicit-def: $vgpr7
.LBB0_381:
	s_andn2_saveexec_b64 s[22:23], s[22:23]
	s_cbranch_execz .LBB0_383
; %bb.382:
	s_mov_b32 s26, 0xc5024921
	v_div_scale_f32 v0, s[24:25], v16, v16, s26
	v_rcp_f32_e32 v1, v0
	s_mov_b32 s27, 0xc6060060
	v_mov_b32_e32 v8, 0x3a9c9bdc
	v_fmac_f32_e32 v8, 0xb72984d9, v16
	v_fma_f32 v3, -v0, v1, 1.0
	v_fmac_f32_e32 v1, v3, v1
	v_div_scale_f32 v3, vcc, s26, v16, s26
	v_mul_f32_e32 v5, v3, v1
	v_fma_f32 v6, -v0, v5, v3
	v_fmac_f32_e32 v5, v6, v1
	v_fma_f32 v0, -v0, v5, v3
	v_div_scale_f32 v3, s[24:25], v16, v16, s27
	v_rcp_f32_e32 v6, v3
	v_div_fmas_f32 v0, v0, v1, v5
	v_div_fixup_f32 v1, v0, v16, s26
	s_mov_b32 s24, 0x45b8b07a
	v_fma_f32 v0, -v3, v6, 1.0
	v_fmac_f32_e32 v6, v0, v6
	v_div_scale_f32 v0, vcc, s27, v16, s27
	v_mul_f32_e32 v5, v0, v6
	v_fma_f32 v9, -v3, v5, v0
	v_fmac_f32_e32 v5, v9, v6
	v_fma_f32 v0, -v3, v5, v0
	v_div_fmas_f32 v0, v0, v6, v5
	v_div_fixup_f32 v0, v0, v16, s27
	s_mov_b32 s25, 0xc4833fb4
	v_pk_add_f32 v[10:11], v[0:1], s[24:25]
	v_div_scale_f32 v3, s[24:25], v16, v16, v11
	v_rcp_f32_e32 v5, v3
	s_mov_b32 s24, 0xbe8cee3d
	s_mov_b32 s25, 0xc02e6238
	v_pk_add_f32 v[0:1], v[16:17], s[24:25] op_sel_hi:[0,1]
	v_fma_f32 v6, -v3, v5, 1.0
	v_fmac_f32_e32 v5, v6, v5
	v_div_scale_f32 v6, vcc, v11, v16, v11
	v_mul_f32_e32 v12, v6, v5
	v_fma_f32 v13, -v3, v12, v6
	v_fmac_f32_e32 v12, v13, v5
	v_fma_f32 v3, -v3, v12, v6
	v_div_scale_f32 v6, s[24:25], v16, v16, v10
	v_rcp_f32_e32 v13, v6
	v_div_fmas_f32 v3, v3, v5, v12
	v_div_fixup_f32 v11, v3, v16, v11
	s_mov_b32 s24, 0xc4d58275
	v_fma_f32 v3, -v6, v13, 1.0
	v_fmac_f32_e32 v13, v3, v13
	v_div_scale_f32 v3, vcc, v10, v16, v10
	v_mul_f32_e32 v5, v3, v13
	v_fma_f32 v12, -v6, v5, v3
	v_fmac_f32_e32 v5, v12, v13
	v_fma_f32 v3, -v6, v5, v3
	v_div_fmas_f32 v3, v3, v13, v5
	v_div_fixup_f32 v10, v3, v16, v10
	s_mov_b32 s25, 0x43a9f21d
	v_pk_add_f32 v[10:11], v[10:11], s[24:25]
	v_div_scale_f32 v3, s[24:25], v16, v16, v11
	v_rcp_f32_e32 v5, v3
	s_mov_b32 s24, 0xbd89fc71
	v_mov_b32_e32 v9, 0x39b1bf10
	s_mov_b32 s25, 0xbdbf7bb1
	v_fma_f32 v6, -v3, v5, 1.0
	v_fmac_f32_e32 v5, v6, v5
	v_div_scale_f32 v6, vcc, v11, v16, v11
	v_mul_f32_e32 v12, v6, v5
	v_fma_f32 v13, -v3, v12, v6
	v_fmac_f32_e32 v12, v13, v5
	v_pk_fma_f32 v[8:9], v[16:17], v[8:9], s[24:25] op_sel_hi:[0,1,1]
	v_fma_f32 v3, -v3, v12, v6
	v_div_scale_f32 v6, s[24:25], v16, v16, v10
	v_rcp_f32_e32 v13, v6
	v_div_fmas_f32 v3, v3, v5, v12
	v_div_fixup_f32 v11, v3, v16, v11
	s_mov_b32 s24, 0x438444b2
	v_fma_f32 v3, -v6, v13, 1.0
	v_fmac_f32_e32 v13, v3, v13
	v_div_scale_f32 v3, vcc, v10, v16, v10
	v_mul_f32_e32 v5, v3, v13
	v_fma_f32 v12, -v6, v5, v3
	v_fmac_f32_e32 v5, v12, v13
	v_fma_f32 v3, -v6, v5, v3
	v_div_fmas_f32 v3, v3, v13, v5
	v_div_fixup_f32 v10, v3, v16, v10
	s_mov_b32 s25, 0xc31c2f4f
	v_pk_add_f32 v[10:11], v[10:11], s[24:25]
	v_div_scale_f32 v3, s[24:25], v16, v16, v11
	v_rcp_f32_e32 v5, v3
	s_mov_b32 s24, 0x3fa0e734
	s_mov_b32 s25, 0xc0871bf9
	v_pk_fma_f32 v[8:9], v[16:17], v[8:9], s[24:25] op_sel_hi:[0,1,1]
	v_fma_f32 v6, -v3, v5, 1.0
	v_fmac_f32_e32 v5, v6, v5
	v_div_scale_f32 v6, vcc, v11, v16, v11
	v_mul_f32_e32 v12, v6, v5
	v_fma_f32 v13, -v3, v12, v6
	v_fmac_f32_e32 v12, v13, v5
	v_fma_f32 v3, -v3, v12, v6
	v_div_scale_f32 v6, s[24:25], v16, v16, v10
	v_rcp_f32_e32 v13, v6
	v_div_fmas_f32 v3, v3, v5, v12
	v_div_fixup_f32 v11, v3, v16, v11
	s_mov_b32 s26, 0x402e6238
	v_fma_f32 v3, -v6, v13, 1.0
	v_fmac_f32_e32 v13, v3, v13
	v_div_scale_f32 v3, vcc, v10, v16, v10
	v_mul_f32_e32 v5, v3, v13
	v_fma_f32 v12, -v6, v5, v3
	v_fmac_f32_e32 v5, v12, v13
	v_fma_f32 v3, -v6, v5, v3
	v_div_fmas_f32 v3, v3, v13, v5
	v_div_fixup_f32 v10, v3, v16, v10
	v_div_scale_f32 v3, s[24:25], v1, v1, s26
	v_rcp_f32_e32 v5, v3
	v_pk_fma_f32 v[8:9], v[16:17], v[8:9], v[10:11] op_sel_hi:[0,1,1]
	s_mov_b32 s24, 0xc1bedb3d
	s_mov_b32 s25, 0x4100225e
	v_fma_f32 v6, -v3, v5, 1.0
	v_fmac_f32_e32 v5, v6, v5
	v_div_scale_f32 v6, vcc, s26, v1, s26
	v_mul_f32_e32 v10, v6, v5
	v_fma_f32 v11, -v3, v10, v6
	v_fmac_f32_e32 v10, v11, v5
	s_mov_b32 s27, 0x3e8cee3d
	v_pk_add_f32 v[8:9], v[8:9], s[24:25]
	v_fma_f32 v3, -v3, v10, v6
	v_div_scale_f32 v6, s[24:25], v0, v0, s27
	v_rcp_f32_e32 v11, v6
	v_div_fmas_f32 v3, v3, v5, v10
	v_div_fixup_f32 v1, v3, v1, s26
	v_mov_b32_e32 v21, 0
	v_fma_f32 v3, -v6, v11, 1.0
	v_fmac_f32_e32 v11, v3, v11
	v_div_scale_f32 v3, vcc, s27, v0, s27
	v_mul_f32_e32 v5, v3, v11
	v_fma_f32 v10, -v6, v5, v3
	v_fmac_f32_e32 v5, v10, v11
	v_fma_f32 v3, -v6, v5, v3
	v_div_fmas_f32 v3, v3, v11, v5
	v_div_fixup_f32 v0, v3, v0, s27
	v_pk_fma_f32 v[8:9], v[4:5], v[8:9], v[0:1] op_sel_hi:[0,1,1]
	v_sub_f32_e32 v0, v7, v2
	v_fmac_f32_e32 v7, v0, v8
	v_add_f32_e32 v0, 1.0, v9
	v_pk_mov_b32 v[4:5], v[8:9], v[8:9] op_sel:[0,1]
	v_mul_f32_e32 v0, v0, v7
	buffer_store_dword v4, off, s[0:3], s32 offset:392 ; 4-byte Folded Spill
	s_nop 0
	buffer_store_dword v5, off, s[0:3], s32 offset:396 ; 4-byte Folded Spill
	buffer_store_dword v6, off, s[0:3], s32 offset:400 ; 4-byte Folded Spill
	;; [unrolled: 1-line block ×6, first 2 shown]
	v_sub_f32_e32 v1, v9, v8
	v_div_scale_f32 v3, s[24:25], v1, v1, v0
	v_rcp_f32_e32 v4, v3
	v_fma_f32 v5, -v3, v4, 1.0
	v_fmac_f32_e32 v4, v5, v4
	v_div_scale_f32 v5, vcc, v0, v1, v0
	v_mul_f32_e32 v6, v5, v4
	v_fma_f32 v7, -v3, v6, v5
	v_fmac_f32_e32 v6, v7, v4
	v_fma_f32 v3, -v3, v6, v5
	v_div_fmas_f32 v3, v3, v4, v6
	v_div_fixup_f32 v20, v3, v1, v0
	v_sub_f32_e32 v2, v2, v20
	v_mov_b32_e32 v5, 0
.LBB0_383:
	s_or_b64 exec, exec, s[22:23]
                                        ; implicit-def: $vgpr7
.LBB0_384:
	s_andn2_saveexec_b64 s[4:5], s[4:5]
	s_cbranch_execz .LBB0_388
; %bb.385:
	s_mov_b32 s22, 0
	v_accvgpr_read_b32 v0, a16
	s_mov_b32 s23, s22
	v_cmp_eq_u32_e32 vcc, 0, v0
	v_pk_mov_b32 v[0:1], s[22:23], s[22:23] op_sel:[0,1]
	buffer_store_dword v0, off, s[0:3], s32 offset:392 ; 4-byte Folded Spill
	s_nop 0
	buffer_store_dword v1, off, s[0:3], s32 offset:396 ; 4-byte Folded Spill
	buffer_store_dword v2, off, s[0:3], s32 offset:400 ; 4-byte Folded Spill
	buffer_store_dword v3, off, s[0:3], s32 offset:404 ; 4-byte Folded Spill
	buffer_store_dword v4, off, s[0:3], s32 offset:408 ; 4-byte Folded Spill
	buffer_store_dword v5, off, s[0:3], s32 offset:412 ; 4-byte Folded Spill
	buffer_store_dword v6, off, s[0:3], s32 offset:416 ; 4-byte Folded Spill
	s_and_saveexec_b64 s[22:23], vcc
	s_cbranch_execz .LBB0_387
; %bb.386:
	v_sub_f32_e32 v0, v2, v7
	v_div_scale_f32 v1, s[24:25], v0, v0, v7
	v_rcp_f32_e32 v3, v1
	v_div_scale_f32 v4, vcc, v7, v0, v7
	v_fma_f32 v5, -v1, v3, 1.0
	v_fmac_f32_e32 v3, v5, v3
	v_mul_f32_e32 v5, v4, v3
	v_fma_f32 v6, -v1, v5, v4
	v_fmac_f32_e32 v5, v6, v3
	v_fma_f32 v1, -v1, v5, v4
	v_div_fmas_f32 v1, v1, v3, v5
	v_div_fixup_f32 v0, v1, v0, v7
	v_mov_b32_e32 v1, 0
	buffer_store_dword v0, off, s[0:3], s32 offset:392 ; 4-byte Folded Spill
	s_nop 0
	buffer_store_dword v1, off, s[0:3], s32 offset:396 ; 4-byte Folded Spill
	buffer_store_dword v2, off, s[0:3], s32 offset:400 ; 4-byte Folded Spill
	;; [unrolled: 1-line block ×6, first 2 shown]
.LBB0_387:
	s_or_b64 exec, exec, s[22:23]
	v_mov_b32_e32 v21, 0
	v_mov_b32_e32 v20, 0
	v_mov_b32_e32 v5, 0
.LBB0_388:
	s_or_b64 exec, exec, s[4:5]
.LBB0_389:
	s_or_b64 exec, exec, s[20:21]
                                        ; implicit-def: $vgpr16
.LBB0_390:
	s_andn2_saveexec_b64 s[18:19], s[18:19]
	s_cbranch_execz .LBB0_404
; %bb.391:
	s_mov_b32 s20, 0x3ef01d82
	v_div_scale_f32 v0, s[4:5], v16, v16, s20
	v_rcp_f32_e32 v1, v0
	v_div_scale_f32 v2, vcc, s20, v16, s20
	s_mov_b32 s21, 0x3f490fdb
	v_fma_f32 v3, -v0, v1, 1.0
	v_fmac_f32_e32 v1, v3, v1
	v_mul_f32_e32 v3, v2, v1
	v_fma_f32 v4, -v0, v3, v2
	v_fmac_f32_e32 v3, v4, v1
	v_fma_f32 v0, -v0, v3, v2
	v_div_fmas_f32 v0, v0, v1, v3
	v_div_fixup_f32 v0, v0, v16, s20
	v_add_f32_e32 v0, 0xbf33161b, v0
	v_div_scale_f32 v1, s[4:5], v16, v16, v0
	v_rcp_f32_e32 v2, v1
	v_mul_f32_e32 v3, 0xbfb8aa3b, v16
	s_mov_b32 s20, 0xbfb8aa3b
	v_rndne_f32_e32 v4, v3
	v_fma_f32 v5, -v1, v2, 1.0
	v_fmac_f32_e32 v2, v5, v2
	v_div_scale_f32 v5, vcc, v0, v16, v0
	v_mul_f32_e32 v6, v5, v2
	v_fma_f32 v7, -v1, v6, v5
	v_fmac_f32_e32 v6, v7, v2
	v_fma_f32 v1, -v1, v6, v5
	v_div_fmas_f32 v1, v1, v2, v6
	v_div_fixup_f32 v0, v1, v16, v0
	v_add_f32_e32 v0, 0x3f0971cf, v0
	v_div_scale_f32 v1, s[4:5], v16, v16, v0
	v_rcp_f32_e32 v2, v1
	v_sub_f32_e32 v5, v3, v4
	v_fma_f32 v3, v16, s20, -v3
	v_fmac_f32_e32 v3, 0xb2a5705f, v16
	v_fma_f32 v6, -v1, v2, 1.0
	v_fmac_f32_e32 v2, v6, v2
	v_div_scale_f32 v6, vcc, v0, v16, v0
	v_mul_f32_e32 v7, v6, v2
	v_fma_f32 v8, -v1, v7, v6
	v_fmac_f32_e32 v7, v8, v2
	v_fma_f32 v1, -v1, v7, v6
	v_div_fmas_f32 v1, v1, v2, v7
	v_div_fixup_f32 v0, v1, v16, v0
	v_add_f32_e32 v0, 0xbea85c72, v0
	v_div_scale_f32 v1, s[4:5], v16, v16, v0
	v_rcp_f32_e32 v2, v1
	v_add_f32_e32 v3, v5, v3
	v_exp_f32_e32 v3, v3
	v_cvt_i32_f32_e32 v4, v4
	v_fma_f32 v5, -v1, v2, 1.0
	v_fmac_f32_e32 v2, v5, v2
	v_div_scale_f32 v5, vcc, v0, v16, v0
	v_mul_f32_e32 v6, v5, v2
	v_fma_f32 v7, -v1, v6, v5
	v_fmac_f32_e32 v6, v7, v2
	v_fma_f32 v1, -v1, v6, v5
	v_div_fmas_f32 v1, v1, v2, v6
	v_div_fixup_f32 v0, v1, v16, v0
	v_add_f32_e32 v0, 0x3e7c5ef4, v0
	v_div_scale_f32 v1, s[4:5], v16, v16, v0
	v_rcp_f32_e32 v2, v1
	v_ldexp_f32 v3, v3, v4
	s_mov_b32 s20, 0x42ce8ed0
                                        ; implicit-def: $vgpr21
	v_fma_f32 v4, -v1, v2, 1.0
	v_fmac_f32_e32 v2, v4, v2
	v_div_scale_f32 v4, vcc, v0, v16, v0
	v_mul_f32_e32 v5, v4, v2
	v_fma_f32 v6, -v1, v5, v4
	v_fmac_f32_e32 v5, v6, v2
	v_fma_f32 v1, -v1, v5, v4
	v_div_fmas_f32 v1, v1, v2, v5
	v_div_fixup_f32 v0, v1, v16, v0
	v_add_f32_e32 v0, 0xbeffeb20, v0
	v_div_scale_f32 v1, s[4:5], v16, v16, v0
	v_rcp_f32_e32 v2, v1
	v_cmp_nlt_f32_e32 vcc, s20, v16
	v_cndmask_b32_e32 v3, 0, v3, vcc
	s_mov_b32 s20, 0xc2b17218
	v_fma_f32 v5, -v1, v2, 1.0
	v_fmac_f32_e32 v2, v5, v2
	v_div_scale_f32 v5, vcc, v0, v16, v0
	v_mul_f32_e32 v6, v5, v2
	v_fma_f32 v7, -v1, v6, v5
	v_fmac_f32_e32 v6, v7, v2
	v_div_scale_f32 v7, s[4:5], v16, v16, s21
	v_rcp_f32_e32 v8, v7
	v_fma_f32 v1, -v1, v6, v5
	v_div_fmas_f32 v1, v1, v2, v6
	s_mov_b32 s4, 0xf800000
	v_fma_f32 v2, -v7, v8, 1.0
	v_fmac_f32_e32 v8, v2, v8
	v_div_scale_f32 v2, vcc, s21, v16, s21
	v_mul_f32_e32 v5, v2, v8
	v_fma_f32 v6, -v7, v5, v2
	v_fmac_f32_e32 v5, v6, v8
	v_fma_f32 v2, -v7, v5, v2
	v_div_fmas_f32 v2, v2, v8, v5
	v_div_fixup_f32 v2, v2, v16, s21
	v_mul_f32_e32 v5, 0x4f800000, v2
	v_cmp_gt_f32_e32 vcc, s4, v2
	v_cndmask_b32_e32 v2, v2, v5, vcc
	v_sqrt_f32_e32 v5, v2
	v_mov_b32_e32 v4, 0x7f800000
	v_cmp_ngt_f32_e64 s[4:5], s20, v16
	v_div_fixup_f32 v0, v1, v16, v0
	v_add_u32_e32 v1, -1, v5
	v_cndmask_b32_e64 v9, v4, v3, s[4:5]
	v_fma_f32 v3, -v1, v5, v2
	v_cmp_ge_f32_e64 s[4:5], 0, v3
	v_add_u32_e32 v3, 1, v5
	v_fma_f32 v4, -v3, v5, v2
	v_cndmask_b32_e64 v1, v5, v1, s[4:5]
	v_cmp_lt_f32_e64 s[4:5], 0, v4
	v_cndmask_b32_e64 v1, v1, v3, s[4:5]
	v_mul_f32_e32 v3, 0x37800000, v1
	v_cndmask_b32_e32 v1, v1, v3, vcc
	v_mov_b32_e32 v3, 0x260
	v_cmp_class_f32_e32 vcc, v2, v3
	v_add_f32_e32 v0, 0xb6536671, v0
	v_cndmask_b32_e32 v2, v1, v2, vcc
	v_fmac_f32_e32 v2, v9, v0
	v_sub_f32_e32 v1, v2, v9
	v_add_f32_e32 v0, v16, v16
	v_div_scale_f32 v3, s[4:5], v0, v0, v1
	v_rcp_f32_e32 v4, v3
	v_fma_f32 v5, -v3, v4, 1.0
	v_fmac_f32_e32 v4, v5, v4
	v_div_scale_f32 v5, vcc, v1, v0, v1
	v_mul_f32_e32 v6, v5, v4
	v_fma_f32 v7, -v3, v6, v5
	v_fmac_f32_e32 v6, v7, v4
	v_fma_f32 v3, -v3, v6, v5
	v_div_fmas_f32 v3, v3, v4, v6
	v_div_fixup_f32 v7, v3, v0, v1
	v_accvgpr_read_b32 v1, a16
                                        ; implicit-def: $vgpr4_vgpr5
	v_cmp_lt_i32_e32 vcc, 0, v1
	buffer_store_dword v4, off, s[0:3], s32 offset:392 ; 4-byte Folded Spill
	s_nop 0
	buffer_store_dword v5, off, s[0:3], s32 offset:396 ; 4-byte Folded Spill
	buffer_store_dword v6, off, s[0:3], s32 offset:400 ; 4-byte Folded Spill
	;; [unrolled: 1-line block ×6, first 2 shown]
                                        ; implicit-def: $vgpr5
	s_and_saveexec_b64 s[4:5], vcc
	s_xor_b64 s[4:5], exec, s[4:5]
	s_cbranch_execz .LBB0_399
; %bb.392:
	v_accvgpr_read_b32 v1, a16
                                        ; implicit-def: $vgpr4_vgpr5
	v_cmp_lt_i32_e32 vcc, 1, v1
	buffer_store_dword v4, off, s[0:3], s32 offset:392 ; 4-byte Folded Spill
	s_nop 0
	buffer_store_dword v5, off, s[0:3], s32 offset:396 ; 4-byte Folded Spill
	buffer_store_dword v6, off, s[0:3], s32 offset:400 ; 4-byte Folded Spill
	;; [unrolled: 1-line block ×6, first 2 shown]
                                        ; implicit-def: $vgpr21
                                        ; implicit-def: $vgpr5
	s_and_saveexec_b64 s[20:21], vcc
	s_xor_b64 s[20:21], exec, s[20:21]
	s_cbranch_execz .LBB0_396
; %bb.393:
	s_mov_b32 s22, 0
	s_mov_b32 s23, s22
	v_pk_mov_b32 v[4:5], s[22:23], s[22:23] op_sel:[0,1]
	v_accvgpr_read_b32 v1, a16
	buffer_store_dword v4, off, s[0:3], s32 offset:392 ; 4-byte Folded Spill
	s_nop 0
	buffer_store_dword v5, off, s[0:3], s32 offset:396 ; 4-byte Folded Spill
	buffer_store_dword v6, off, s[0:3], s32 offset:400 ; 4-byte Folded Spill
	;; [unrolled: 1-line block ×6, first 2 shown]
	v_cmp_eq_u32_e32 vcc, 2, v1
	v_mov_b32_e32 v21, 0
	v_mov_b32_e32 v20, 0
	;; [unrolled: 1-line block ×3, first 2 shown]
	s_and_saveexec_b64 s[22:23], vcc
	s_cbranch_execz .LBB0_395
; %bb.394:
	v_add_f32_e32 v4, 0xc0f00000, v16
	v_mov_b32_e32 v10, 0x264d2fc8
	v_mov_b32_e32 v11, 0x27fbf9fd
	s_mov_b32 s24, 0xa997b271
	v_fmac_f32_e32 v10, 0x26259169, v4
	v_fmac_f32_e32 v11, 0x284c6614, v4
	s_mov_b32 s25, 0xab71f1f5
	v_pk_fma_f32 v[10:11], v[4:5], v[10:11], s[24:25] op_sel_hi:[0,1,1]
	s_mov_b32 s24, 0xab30554d
	s_mov_b32 s25, 0xacba40b2
	v_pk_fma_f32 v[10:11], v[4:5], v[10:11], s[24:25] op_sel_hi:[0,1,1]
	s_mov_b32 s24, 0x2d676934
	;; [unrolled: 3-line block ×6, first 2 shown]
	s_mov_b32 s25, 0x37226b9e
	v_mov_b32_e32 v1, 0x2a503dd5
	v_pk_fma_f32 v[10:11], v[4:5], v[10:11], s[24:25] op_sel_hi:[0,1,1]
	s_mov_b32 s24, 0xb7364b67
	v_fmac_f32_e32 v1, 0x27f012f7, v4
	v_mov_b32_e32 v3, 0xac0bb11f
	s_mov_b32 s25, 0xb93061d2
	v_fmac_f32_e32 v3, v4, v1
	v_mov_b32_e32 v1, 0xadcb20ac
	v_pk_fma_f32 v[10:11], v[4:5], v[10:11], s[24:25] op_sel_hi:[0,1,1]
	s_mov_b32 s24, 0x393a92d3
	v_fmac_f32_e32 v1, v4, v3
	v_mov_b32_e32 v3, 0x2fd764bb
	s_mov_b32 s25, 0x3b309523
	v_fmac_f32_e32 v3, v4, v1
	;; [unrolled: 7-line block ×4, first 2 shown]
	v_mov_b32_e32 v1, 0xb803cc7a
	v_pk_fma_f32 v[14:15], v[4:5], v[10:11], s[24:25] op_sel_hi:[0,1,1]
	v_fmac_f32_e32 v1, v4, v3
	v_mov_b32_e32 v3, 0xbaf1106b
	v_fmac_f32_e32 v3, v4, v1
	v_add_f32_e32 v1, 1.0, v14
	v_div_scale_f32 v5, s[24:25], v1, v1, v14
	v_rcp_f32_e32 v8, v5
	v_mov_b32_e32 v6, 0x3d0fdee6
	v_fmac_f32_e32 v6, v4, v3
	v_mul_f32_e32 v6, v4, v6
	v_fma_f32 v3, -v5, v8, 1.0
	v_fmac_f32_e32 v8, v3, v8
	v_div_scale_f32 v3, vcc, v14, v1, v14
	v_mul_f32_e32 v10, v3, v8
	v_fma_f32 v11, -v5, v10, v3
	v_fmac_f32_e32 v10, v11, v8
	v_fma_f32 v3, -v5, v10, v3
	v_add_f32_e32 v5, 1.0, v15
	v_div_scale_f32 v11, s[24:25], v5, v5, v15
	v_rcp_f32_e32 v12, v11
	v_div_fmas_f32 v3, v3, v8, v10
	v_div_fixup_f32 v10, v3, v1, v14
	v_fma_f32 v1, -v11, v12, 1.0
	v_fmac_f32_e32 v12, v1, v12
	v_div_scale_f32 v1, vcc, v15, v5, v15
	v_mul_f32_e32 v3, v1, v12
	v_fma_f32 v8, -v11, v3, v1
	v_fmac_f32_e32 v3, v8, v12
	v_fma_f32 v1, -v11, v3, v1
	v_div_fmas_f32 v1, v1, v12, v3
	v_pk_mov_b32 v[12:13], v[14:15], v[14:15] op_sel:[0,1]
	s_waitcnt vmcnt(21)
	buffer_store_dword v12, off, s[0:3], s32 offset:392 ; 4-byte Folded Spill
	s_nop 0
	buffer_store_dword v13, off, s[0:3], s32 offset:396 ; 4-byte Folded Spill
	buffer_store_dword v14, off, s[0:3], s32 offset:400 ; 4-byte Folded Spill
	;; [unrolled: 1-line block ×6, first 2 shown]
	v_mov_b32_e32 v16, 0xbea5091a
	v_mov_b32_e32 v17, v7
	v_pk_add_f32 v[16:17], v[6:7], v[16:17]
	v_mov_b32_e32 v8, 0x3fde2f9f
	v_fma_f32 v14, -v2, v10, v7
	v_div_fixup_f32 v12, v1, v5, v15
	v_mov_b32_e32 v5, v7
	v_pk_fma_f32 v[4:5], v[4:5], v[16:17], v[8:9]
	v_add_f32_e32 v3, 1.0, v4
	v_div_scale_f32 v5, s[24:25], v3, v3, v4
	v_rcp_f32_e32 v11, v5
	v_mul_f32_e32 v15, v7, v10
	v_pk_add_f32 v[6:7], v[6:7], v[16:17]
	v_pk_add_f32 v[6:7], v[6:7], v[8:9] neg_lo:[0,1] neg_hi:[0,1]
	v_fma_f32 v6, -v5, v11, 1.0
	v_fmac_f32_e32 v11, v6, v11
	v_div_scale_f32 v6, vcc, v4, v3, v4
	v_mul_f32_e32 v8, v6, v11
	v_fma_f32 v9, -v5, v8, v6
	v_fmac_f32_e32 v8, v9, v11
	v_div_scale_f32 v9, s[24:25], v0, v0, v7
	v_rcp_f32_e32 v13, v9
	v_fma_f32 v5, -v5, v8, v6
	v_div_fmas_f32 v5, v5, v11, v8
	v_div_fixup_f32 v6, v5, v3, v4
	v_fma_f32 v3, -v9, v13, 1.0
	v_fmac_f32_e32 v13, v3, v13
	v_div_scale_f32 v3, vcc, v7, v0, v7
	v_mul_f32_e32 v5, v3, v13
	v_fma_f32 v8, -v9, v5, v3
	v_fmac_f32_e32 v5, v8, v13
	v_fma_f32 v3, -v9, v5, v3
	v_div_fmas_f32 v3, v3, v13, v5
	v_div_fixup_f32 v7, v3, v0, v7
	v_mul_f32_e32 v1, v12, v14
	v_pk_mul_f32 v[16:17], v[6:7], v[14:15]
	v_pk_add_f32 v[14:15], v[6:7], v[14:15] neg_lo:[0,1] neg_hi:[0,1]
	v_mov_b32_e32 v13, v6
	v_sub_f32_e32 v8, v6, v12
	v_mov_b32_e32 v17, v15
	v_mov_b32_e32 v0, v15
	v_pk_add_f32 v[6:7], v[12:13], v[10:11] op_sel_hi:[1,0] neg_lo:[0,1] neg_hi:[0,1]
	v_pk_add_f32 v[0:1], v[16:17], v[0:1] neg_lo:[0,1] neg_hi:[0,1]
	v_pk_mul_f32 v[6:7], v[8:9], v[6:7] op_sel_hi:[0,1]
	v_div_scale_f32 v3, s[24:25], v7, v7, v1
	v_rcp_f32_e32 v5, v3
	v_fma_f32 v8, -v3, v5, 1.0
	v_fmac_f32_e32 v5, v8, v5
	v_div_scale_f32 v8, vcc, v1, v7, v1
	v_mul_f32_e32 v9, v8, v5
	v_fma_f32 v10, -v3, v9, v8
	v_fmac_f32_e32 v9, v10, v5
	v_fma_f32 v3, -v3, v9, v8
	v_div_scale_f32 v8, s[24:25], v6, v6, v0
	v_rcp_f32_e32 v10, v8
	v_div_fmas_f32 v3, v3, v5, v9
	v_div_fixup_f32 v21, v3, v7, v1
	v_fma_f32 v1, -v8, v10, 1.0
	v_fmac_f32_e32 v10, v1, v10
	v_div_scale_f32 v1, vcc, v0, v6, v0
	v_mul_f32_e32 v3, v1, v10
	v_fma_f32 v5, -v8, v3, v1
	v_fmac_f32_e32 v3, v5, v10
	v_fma_f32 v1, -v8, v3, v1
	v_div_fmas_f32 v1, v1, v10, v3
	v_div_fixup_f32 v20, v1, v6, v0
	v_sub_f32_e32 v0, v2, v20
	v_sub_f32_e32 v2, v0, v21
	v_mov_b32_e32 v5, v4
.LBB0_395:
	s_or_b64 exec, exec, s[22:23]
                                        ; implicit-def: $vgpr16
                                        ; implicit-def: $vgpr7
.LBB0_396:
	s_andn2_saveexec_b64 s[20:21], s[20:21]
	s_cbranch_execz .LBB0_398
; %bb.397:
	v_add_f32_e32 v0, 0xc0f00000, v16
	v_mov_b32_e32 v1, 0x25894ff5
	v_fmac_f32_e32 v1, 0xa52598e6, v0
	v_mov_b32_e32 v3, 0x2874b170
	v_fmac_f32_e32 v3, v0, v1
	v_mov_b32_e32 v1, 0xaa19400c
	v_mov_b32_e32 v4, 0xa99f1434
	v_fmac_f32_e32 v1, 0x28e01771, v0
	v_mov_b32_e32 v5, 0xac1c860c
	s_mov_b32 s22, 0xab59476c
	v_fmac_f32_e32 v4, v0, v3
	v_fmac_f32_e32 v5, v0, v1
	s_mov_b32 s23, 0x2e384d81
	v_pk_fma_f32 v[4:5], v[0:1], v[4:5], s[22:23] op_sel_hi:[0,1,1]
	s_mov_b32 s22, 0x2d09438a
	s_mov_b32 s23, 0xaf746414
	v_pk_fma_f32 v[4:5], v[0:1], v[4:5], s[22:23] op_sel_hi:[0,1,1]
	s_mov_b32 s22, 0x2e91c462
	;; [unrolled: 3-line block ×10, first 2 shown]
	s_mov_b32 s23, 0x3f0b75bc
	v_pk_fma_f32 v[8:9], v[0:1], v[4:5], s[22:23] op_sel_hi:[0,1,1]
	v_sub_f32_e32 v0, v7, v2
	v_fmac_f32_e32 v7, v0, v8
	v_add_f32_e32 v0, 1.0, v9
	v_pk_mov_b32 v[4:5], v[8:9], v[8:9] op_sel:[0,1]
	v_mul_f32_e32 v0, v0, v7
	buffer_store_dword v4, off, s[0:3], s32 offset:392 ; 4-byte Folded Spill
	s_nop 0
	buffer_store_dword v5, off, s[0:3], s32 offset:396 ; 4-byte Folded Spill
	buffer_store_dword v6, off, s[0:3], s32 offset:400 ; 4-byte Folded Spill
	;; [unrolled: 1-line block ×6, first 2 shown]
	v_mov_b32_e32 v21, 0
	v_sub_f32_e32 v1, v9, v8
	v_div_scale_f32 v3, s[22:23], v1, v1, v0
	v_rcp_f32_e32 v4, v3
	v_fma_f32 v5, -v3, v4, 1.0
	v_fmac_f32_e32 v4, v5, v4
	v_div_scale_f32 v5, vcc, v0, v1, v0
	v_mul_f32_e32 v6, v5, v4
	v_fma_f32 v7, -v3, v6, v5
	v_fmac_f32_e32 v6, v7, v4
	v_fma_f32 v3, -v3, v6, v5
	v_div_fmas_f32 v3, v3, v4, v6
	v_div_fixup_f32 v20, v3, v1, v0
	v_sub_f32_e32 v2, v2, v20
	v_mov_b32_e32 v5, 0
.LBB0_398:
	s_or_b64 exec, exec, s[20:21]
                                        ; implicit-def: $vgpr7
.LBB0_399:
	s_andn2_saveexec_b64 s[4:5], s[4:5]
	s_cbranch_execz .LBB0_403
; %bb.400:
	s_mov_b32 s20, 0
	v_accvgpr_read_b32 v0, a16
	s_mov_b32 s21, s20
	v_cmp_eq_u32_e32 vcc, 0, v0
	v_pk_mov_b32 v[0:1], s[20:21], s[20:21] op_sel:[0,1]
	buffer_store_dword v0, off, s[0:3], s32 offset:392 ; 4-byte Folded Spill
	s_nop 0
	buffer_store_dword v1, off, s[0:3], s32 offset:396 ; 4-byte Folded Spill
	buffer_store_dword v2, off, s[0:3], s32 offset:400 ; 4-byte Folded Spill
	buffer_store_dword v3, off, s[0:3], s32 offset:404 ; 4-byte Folded Spill
	buffer_store_dword v4, off, s[0:3], s32 offset:408 ; 4-byte Folded Spill
	buffer_store_dword v5, off, s[0:3], s32 offset:412 ; 4-byte Folded Spill
	buffer_store_dword v6, off, s[0:3], s32 offset:416 ; 4-byte Folded Spill
	s_and_saveexec_b64 s[20:21], vcc
	s_cbranch_execz .LBB0_402
; %bb.401:
	v_sub_f32_e32 v0, v2, v7
	v_div_scale_f32 v1, s[22:23], v0, v0, v7
	v_rcp_f32_e32 v3, v1
	v_div_scale_f32 v4, vcc, v7, v0, v7
	v_fma_f32 v5, -v1, v3, 1.0
	v_fmac_f32_e32 v3, v5, v3
	v_mul_f32_e32 v5, v4, v3
	v_fma_f32 v6, -v1, v5, v4
	v_fmac_f32_e32 v5, v6, v3
	v_fma_f32 v1, -v1, v5, v4
	v_div_fmas_f32 v1, v1, v3, v5
	v_div_fixup_f32 v0, v1, v0, v7
	v_mov_b32_e32 v1, 0
	buffer_store_dword v0, off, s[0:3], s32 offset:392 ; 4-byte Folded Spill
	s_nop 0
	buffer_store_dword v1, off, s[0:3], s32 offset:396 ; 4-byte Folded Spill
	buffer_store_dword v2, off, s[0:3], s32 offset:400 ; 4-byte Folded Spill
	buffer_store_dword v3, off, s[0:3], s32 offset:404 ; 4-byte Folded Spill
	buffer_store_dword v4, off, s[0:3], s32 offset:408 ; 4-byte Folded Spill
	buffer_store_dword v5, off, s[0:3], s32 offset:412 ; 4-byte Folded Spill
	buffer_store_dword v6, off, s[0:3], s32 offset:416 ; 4-byte Folded Spill
.LBB0_402:
	s_or_b64 exec, exec, s[20:21]
	v_mov_b32_e32 v21, 0
	v_mov_b32_e32 v20, 0
	;; [unrolled: 1-line block ×3, first 2 shown]
.LBB0_403:
	s_or_b64 exec, exec, s[4:5]
.LBB0_404:
	s_or_b64 exec, exec, s[18:19]
                                        ; implicit-def: $vgpr16
.LBB0_405:
	s_andn2_saveexec_b64 s[4:5], s[16:17]
	s_cbranch_execz .LBB0_468
; %bb.406:
	v_accvgpr_read_b32 v0, a16
	v_add_f32_e32 v4, -4.0, v16
	v_cmp_lt_i32_e32 vcc, 0, v0
                                        ; implicit-def: $vgpr0_vgpr1
	buffer_store_dword v0, off, s[0:3], s32 offset:392 ; 4-byte Folded Spill
	s_nop 0
	buffer_store_dword v1, off, s[0:3], s32 offset:396 ; 4-byte Folded Spill
	buffer_store_dword v2, off, s[0:3], s32 offset:400 ; 4-byte Folded Spill
	;; [unrolled: 1-line block ×6, first 2 shown]
                                        ; implicit-def: $vgpr21
                                        ; implicit-def: $vgpr2
                                        ; implicit-def: $vgpr5
	s_and_saveexec_b64 s[16:17], vcc
	s_xor_b64 s[16:17], exec, s[16:17]
	s_cbranch_execz .LBB0_414
; %bb.407:
	v_accvgpr_read_b32 v0, a16
	v_cmp_lt_i32_e32 vcc, 1, v0
                                        ; implicit-def: $vgpr0_vgpr1
	buffer_store_dword v0, off, s[0:3], s32 offset:392 ; 4-byte Folded Spill
	s_nop 0
	buffer_store_dword v1, off, s[0:3], s32 offset:396 ; 4-byte Folded Spill
	buffer_store_dword v2, off, s[0:3], s32 offset:400 ; 4-byte Folded Spill
	;; [unrolled: 1-line block ×6, first 2 shown]
                                        ; implicit-def: $vgpr21
                                        ; implicit-def: $vgpr2
                                        ; implicit-def: $vgpr5
	s_and_saveexec_b64 s[18:19], vcc
	s_xor_b64 s[18:19], exec, s[18:19]
	s_cbranch_execz .LBB0_411
; %bb.408:
	s_mov_b32 s20, 0
	v_accvgpr_read_b32 v0, a16
	s_mov_b32 s21, s20
	v_cmp_eq_u32_e32 vcc, 2, v0
	v_pk_mov_b32 v[0:1], s[20:21], s[20:21] op_sel:[0,1]
	buffer_store_dword v0, off, s[0:3], s32 offset:392 ; 4-byte Folded Spill
	s_nop 0
	buffer_store_dword v1, off, s[0:3], s32 offset:396 ; 4-byte Folded Spill
	buffer_store_dword v2, off, s[0:3], s32 offset:400 ; 4-byte Folded Spill
	;; [unrolled: 1-line block ×6, first 2 shown]
	v_mov_b32_e32 v21, 0
	v_mov_b32_e32 v20, 0
	v_mov_b32_e32 v2, 0
	v_mov_b32_e32 v5, 0
	s_and_saveexec_b64 s[20:21], vcc
	s_cbranch_execz .LBB0_410
; %bb.409:
	v_mov_b32_e32 v1, 0x2f59351d
	s_mov_b32 s22, 0xb000439b
	v_fmac_f32_e32 v1, 0xade98f26, v4
	v_mov_b32_e32 v0, 0x2d7dcb80
	s_mov_b32 s23, 0x31146a0b
	v_pk_fma_f32 v[0:1], v[4:5], v[0:1], s[22:23] op_sel_hi:[0,1,1]
	s_mov_b32 s22, 0x32036958
	s_mov_b32 s23, 0xb3aabc19
	v_pk_fma_f32 v[0:1], v[4:5], v[0:1], s[22:23] op_sel_hi:[0,1,1]
	s_mov_b32 s22, 0xb4041055
	s_mov_b32 s23, 0x350a4009
	v_pk_fma_f32 v[0:1], v[4:5], v[0:1], s[22:23] op_sel_hi:[0,1,1]
	s_mov_b32 s22, 0x3607f674
	s_mov_b32 s23, 0x373b8ce3
	v_pk_fma_f32 v[0:1], v[4:5], v[0:1], s[22:23] op_sel_hi:[0,1,1]
	s_mov_b32 s22, 0xb7f0cb3c
	s_mov_b32 s23, 0xb9aef9bb
	v_pk_fma_f32 v[0:1], v[4:5], v[0:1], s[22:23] op_sel_hi:[0,1,1]
	s_mov_b32 s22, 0x39c22871
	s_mov_b32 s23, 0x3badde13
	v_pk_fma_f32 v[0:1], v[4:5], v[0:1], s[22:23] op_sel_hi:[0,1,1]
	s_mov_b32 s22, 0xbb89f492
	s_mov_b32 s23, 0xbd73173b
	v_pk_fma_f32 v[0:1], v[4:5], v[0:1], s[22:23] op_sel_hi:[0,1,1]
	s_mov_b32 s22, 0x3d0fba5f
	s_mov_b32 s23, 0x3edcc3b2
	v_pk_fma_f32 v[12:13], v[4:5], v[0:1], s[22:23] op_sel_hi:[0,1,1]
	v_mov_b32_e32 v0, 0xb18f14fa
	v_fmac_f32_e32 v0, 0xafd7f66f, v4
	v_mov_b32_e32 v1, 0x333e03d4
	v_fmac_f32_e32 v1, v4, v0
	v_mov_b32_e32 v0, 0x352bf3f3
	v_fmac_f32_e32 v0, v4, v1
	v_mov_b32_e32 v1, 0xb64d06a4
	v_fmac_f32_e32 v1, v4, v0
	v_mov_b32_e32 v0, 0xb8dcd299
	v_fmac_f32_e32 v0, v4, v1
	v_mov_b32_e32 v1, 0xba20fcf6
	v_fmac_f32_e32 v1, v4, v0
	v_mov_b32_e32 v0, 0x2f9ef5e4
	v_fmac_f32_e32 v0, 0xadd04817, v4
	v_mov_b32_e32 v2, 0xb15a9abc
	v_fmac_f32_e32 v2, v4, v0
	v_mov_b32_e32 v0, 0x330bbb29
	v_fmac_f32_e32 v0, v4, v2
	v_mov_b32_e32 v2, 0xb4a187c8
	v_fmac_f32_e32 v2, v4, v0
	v_mov_b32_e32 v0, 0x3626eec8
	v_fmac_f32_e32 v0, v4, v2
	v_mov_b32_e32 v2, 0xb798214c
	v_fmac_f32_e32 v2, v4, v0
	v_mov_b32_e32 v0, 0x38f02260
	v_fmac_f32_e32 v0, v4, v2
	v_mov_b32_e32 v2, 0xba2011ae
	v_fmac_f32_e32 v2, v4, v0
	v_mov_b32_e32 v0, 0x3b2d65dd
	v_fmac_f32_e32 v0, v4, v2
	v_mul_f32_e32 v2, 0xbfb8aa3b, v16
	s_mov_b32 s22, 0xbfb8aa3b
	v_rndne_f32_e32 v3, v2
	v_sub_f32_e32 v6, v2, v3
	v_fma_f32 v2, v16, s22, -v2
	v_fmac_f32_e32 v2, 0xb2a5705f, v16
	v_add_f32_e32 v2, v6, v2
	v_exp_f32_e32 v2, v2
	v_cvt_i32_f32_e32 v3, v3
	v_mov_b32_e32 v6, 0xbc0df41e
	s_mov_b32 s22, 0x42ce8ed0
	v_fmac_f32_e32 v6, v4, v0
	v_ldexp_f32 v0, v2, v3
	v_cmp_nlt_f32_e32 vcc, s22, v16
	s_mov_b32 s22, 0xc2b17218
	v_cndmask_b32_e32 v0, 0, v0, vcc
	v_mov_b32_e32 v2, 0x7f800000
	v_cmp_ngt_f32_e32 vcc, s22, v16
	v_mul_f32_e32 v17, v4, v6
	v_cndmask_b32_e32 v0, v2, v0, vcc
	v_mov_b32_e32 v3, 0x3c8f923b
	v_mov_b32_e32 v2, v16
	v_pk_add_f32 v[2:3], v[16:17], v[2:3]
	v_fma_f32 v6, v2, v3, v0
	s_mov_b32 s24, 0x40400000
	v_div_scale_f32 v7, s[22:23], s24, s24, v6
	v_rcp_f32_e32 v8, v7
	v_mov_b32_e32 v5, 0x3d48912e
	v_fmac_f32_e32 v5, v4, v1
	v_mov_b32_e32 v1, 0xbf1fdf20
	v_fmac_f32_e32 v1, v4, v5
	;; [unrolled: 2-line block ×3, first 2 shown]
	v_fma_f32 v1, -v7, v8, 1.0
	v_fmac_f32_e32 v8, v1, v8
	v_div_scale_f32 v1, vcc, v6, s24, v6
	v_mul_f32_e32 v4, v1, v8
	v_fma_f32 v9, -v7, v4, v1
	v_fmac_f32_e32 v4, v9, v8
	v_fma_f32 v1, -v7, v4, v1
	v_add_f32_e32 v7, 1.0, v5
	v_div_scale_f32 v9, s[22:23], v7, v7, v5
	v_rcp_f32_e32 v10, v9
	v_div_fmas_f32 v1, v1, v8, v4
	v_div_fixup_f32 v6, v1, s24, v6
	v_fmac_f32_e32 v0, v2, v6
	v_fma_f32 v1, -v9, v10, 1.0
	v_fmac_f32_e32 v10, v1, v10
	v_div_scale_f32 v1, vcc, v5, v7, v5
	v_mul_f32_e32 v2, v1, v10
	v_fma_f32 v4, -v9, v2, v1
	v_fmac_f32_e32 v2, v4, v10
	v_fma_f32 v1, -v9, v2, v1
	v_pk_add_f32 v[8:9], v[12:13], 1.0 op_sel_hi:[1,0]
	v_div_scale_f32 v4, s[22:23], v9, v9, v13
	v_rcp_f32_e32 v11, v4
	v_div_fmas_f32 v1, v1, v10, v2
	v_div_fixup_f32 v2, v1, v7, v5
	v_fma_f32 v1, -v4, v11, 1.0
	v_fmac_f32_e32 v11, v1, v11
	v_div_scale_f32 v1, vcc, v13, v9, v13
	v_mul_f32_e32 v7, v1, v11
	v_fma_f32 v10, -v4, v7, v1
	v_fmac_f32_e32 v7, v10, v11
	v_fma_f32 v1, -v4, v7, v1
	v_div_scale_f32 v4, s[22:23], v8, v8, v12
	v_rcp_f32_e32 v10, v4
	v_div_fmas_f32 v1, v1, v11, v7
	v_div_fixup_f32 v9, v1, v9, v13
	v_fma_f32 v1, -v4, v10, 1.0
	v_fmac_f32_e32 v10, v1, v10
	v_div_scale_f32 v1, vcc, v12, v8, v12
	v_mul_f32_e32 v7, v1, v10
	v_fma_f32 v11, -v4, v7, v1
	v_fmac_f32_e32 v7, v11, v10
	v_fma_f32 v1, -v4, v7, v1
	v_div_fmas_f32 v1, v1, v10, v7
	v_pk_mov_b32 v[10:11], v[12:13], v[12:13] op_sel:[0,1]
	buffer_store_dword v10, off, s[0:3], s32 offset:392 ; 4-byte Folded Spill
	s_nop 0
	buffer_store_dword v11, off, s[0:3], s32 offset:396 ; 4-byte Folded Spill
	buffer_store_dword v12, off, s[0:3], s32 offset:400 ; 4-byte Folded Spill
	buffer_store_dword v13, off, s[0:3], s32 offset:404 ; 4-byte Folded Spill
	buffer_store_dword v14, off, s[0:3], s32 offset:408 ; 4-byte Folded Spill
	buffer_store_dword v15, off, s[0:3], s32 offset:412 ; 4-byte Folded Spill
	buffer_store_dword v16, off, s[0:3], s32 offset:416 ; 4-byte Folded Spill
	v_mov_b32_e32 v7, v9
	v_div_fixup_f32 v8, v1, v8, v12
	v_mul_f32_e32 v10, v8, v0
	v_mov_b32_e32 v11, v8
	v_fma_f32 v1, -v8, v6, v3
	v_pk_add_f32 v[12:13], v[2:3], v[8:9] op_sel_hi:[0,1] neg_lo:[0,1] neg_hi:[0,1]
	v_pk_add_f32 v[6:7], v[6:7], v[10:11] neg_lo:[0,1] neg_hi:[0,1]
	v_mul_f32_e32 v4, v13, v12
	v_fma_f32 v8, -v9, v6, v1
	v_div_scale_f32 v3, s[22:23], v4, v4, v8
	v_rcp_f32_e32 v9, v3
	v_fma_f32 v10, -v3, v9, 1.0
	v_fmac_f32_e32 v9, v10, v9
	v_div_scale_f32 v10, vcc, v8, v4, v8
	v_mul_f32_e32 v11, v10, v9
	v_fma_f32 v12, -v3, v11, v10
	v_fmac_f32_e32 v11, v12, v9
	v_fma_f32 v10, -v3, v11, v10
	v_mov_b32_e32 v3, v13
	v_pk_mul_f32 v[2:3], v[2:3], v[6:7]
	v_sub_f32_e32 v1, v2, v1
	v_div_scale_f32 v2, s[22:23], v3, v3, v1
	v_rcp_f32_e32 v6, v2
	v_div_fmas_f32 v7, v10, v9, v11
	v_div_fixup_f32 v21, v7, v4, v8
	v_fma_f32 v4, -v2, v6, 1.0
	v_fmac_f32_e32 v6, v4, v6
	v_div_scale_f32 v4, vcc, v1, v3, v1
	v_mul_f32_e32 v7, v4, v6
	v_fma_f32 v8, -v2, v7, v4
	v_fmac_f32_e32 v7, v8, v6
	v_fma_f32 v2, -v2, v7, v4
	v_div_fmas_f32 v2, v2, v6, v7
	v_div_fixup_f32 v20, v2, v3, v1
	v_sub_f32_e32 v0, v0, v20
	v_sub_f32_e32 v2, v0, v21
.LBB0_410:
	s_or_b64 exec, exec, s[20:21]
                                        ; implicit-def: $vgpr4
                                        ; implicit-def: $vgpr16
.LBB0_411:
	s_andn2_saveexec_b64 s[18:19], s[18:19]
	s_cbranch_execz .LBB0_413
; %bb.412:
	v_mov_b32_e32 v0, 0x2fb22351
	v_fmac_f32_e32 v0, 0xade6db4a, v4
	v_mov_b32_e32 v1, 0xb1786b26
	v_fmac_f32_e32 v1, v4, v0
	;; [unrolled: 2-line block ×10, first 2 shown]
	v_mul_f32_e32 v0, 0xbfb8aa3b, v16
	v_mul_f32_e32 v17, v4, v1
	s_mov_b32 s20, 0xbfb8aa3b
	v_rndne_f32_e32 v1, v0
	v_sub_f32_e32 v2, v0, v1
	v_fma_f32 v0, v16, s20, -v0
	v_fmac_f32_e32 v0, 0xb2a5705f, v16
	v_add_f32_e32 v0, v2, v0
	v_exp_f32_e32 v5, v0
	v_cvt_i32_f32_e32 v6, v1
	v_mov_b32_e32 v1, 0x3d586f6b
	v_mov_b32_e32 v0, v16
	s_mov_b32 s20, 0x42ce8ed0
	v_pk_add_f32 v[2:3], v[16:17], v[0:1]
	v_ldexp_f32 v0, v5, v6
	v_cmp_nlt_f32_e32 vcc, s20, v16
	s_mov_b32 s20, 0xc2b17218
	v_cndmask_b32_e32 v0, 0, v0, vcc
	v_mov_b32_e32 v1, 0x7f800000
	v_cmp_ngt_f32_e32 vcc, s20, v16
	v_cndmask_b32_e32 v5, v1, v0, vcc
	v_mov_b32_e32 v0, 0x2e9c54b0
	v_fmac_f32_e32 v0, 0xac90ce0a, v4
	v_mov_b32_e32 v1, 0xb0ee7801
	v_fmac_f32_e32 v1, v4, v0
	;; [unrolled: 2-line block ×4, first 2 shown]
	v_fmac_f32_e32 v1, 0xaf4685e4, v4
	v_mov_b32_e32 v2, 0x3289bd4b
	v_fmac_f32_e32 v2, v4, v1
	v_mov_b32_e32 v1, 0xb420d855
	;; [unrolled: 2-line block ×3, first 2 shown]
	v_fmac_f32_e32 v2, v4, v1
	s_mov_b32 s20, 0xb583020c
	v_mul_f32_e32 v0, v4, v0
	v_mul_f32_e32 v1, v4, v2
	s_mov_b32 s21, 0x379bedff
	v_pk_add_f32 v[0:1], v[0:1], s[20:21]
	s_mov_b32 s20, 0x373601b0
	s_mov_b32 s21, 0xb7abb3dc
	v_pk_fma_f32 v[0:1], v[4:5], v[0:1], s[20:21] op_sel_hi:[0,1,1]
	s_mov_b32 s20, 0xb8ec27f6
	s_mov_b32 s21, 0xbb236640
	v_pk_fma_f32 v[0:1], v[4:5], v[0:1], s[20:21] op_sel_hi:[0,1,1]
	;; [unrolled: 3-line block ×5, first 2 shown]
	v_sub_f32_e32 v0, v3, v5
	v_fmac_f32_e32 v3, v6, v0
	v_add_f32_e32 v0, 1.0, v7
	v_mul_f32_e32 v0, v0, v3
	v_pk_mov_b32 v[2:3], v[6:7], v[6:7] op_sel:[0,1]
	buffer_store_dword v2, off, s[0:3], s32 offset:392 ; 4-byte Folded Spill
	s_nop 0
	buffer_store_dword v3, off, s[0:3], s32 offset:396 ; 4-byte Folded Spill
	buffer_store_dword v4, off, s[0:3], s32 offset:400 ; 4-byte Folded Spill
	;; [unrolled: 1-line block ×6, first 2 shown]
	v_mov_b32_e32 v21, 0
	v_sub_f32_e32 v1, v7, v6
	v_div_scale_f32 v2, s[20:21], v1, v1, v0
	v_rcp_f32_e32 v3, v2
	v_fma_f32 v4, -v2, v3, 1.0
	v_fmac_f32_e32 v3, v4, v3
	v_div_scale_f32 v4, vcc, v0, v1, v0
	v_mul_f32_e32 v6, v4, v3
	v_fma_f32 v7, -v2, v6, v4
	v_fmac_f32_e32 v6, v7, v3
	v_fma_f32 v2, -v2, v6, v4
	v_div_fmas_f32 v2, v2, v3, v6
	v_div_fixup_f32 v20, v2, v1, v0
	v_sub_f32_e32 v2, v5, v20
	v_mov_b32_e32 v5, 0
.LBB0_413:
	s_or_b64 exec, exec, s[18:19]
                                        ; implicit-def: $vgpr4
                                        ; implicit-def: $vgpr16
.LBB0_414:
	s_andn2_saveexec_b64 s[16:17], s[16:17]
	s_cbranch_execz .LBB0_418
; %bb.415:
	s_mov_b32 s18, 0
	v_accvgpr_read_b32 v0, a16
	s_mov_b32 s19, s18
	v_cmp_eq_u32_e32 vcc, 0, v0
	v_pk_mov_b32 v[0:1], s[18:19], s[18:19] op_sel:[0,1]
	buffer_store_dword v0, off, s[0:3], s32 offset:392 ; 4-byte Folded Spill
	s_nop 0
	buffer_store_dword v1, off, s[0:3], s32 offset:396 ; 4-byte Folded Spill
	buffer_store_dword v2, off, s[0:3], s32 offset:400 ; 4-byte Folded Spill
	;; [unrolled: 1-line block ×6, first 2 shown]
	v_mov_b32_e32 v21, 0
	v_mov_b32_e32 v2, 0
	s_and_saveexec_b64 s[18:19], vcc
	s_cbranch_execz .LBB0_417
; %bb.416:
	v_mov_b32_e32 v0, 0x2fb22351
	v_fmac_f32_e32 v0, 0xade6db4a, v4
	v_mov_b32_e32 v1, 0xb1786b26
	v_fmac_f32_e32 v1, v4, v0
	;; [unrolled: 2-line block ×10, first 2 shown]
	v_mul_f32_e32 v0, 0xbfb8aa3b, v16
	v_mul_f32_e32 v17, v4, v1
	s_mov_b32 s20, 0xbfb8aa3b
	v_rndne_f32_e32 v1, v0
	v_sub_f32_e32 v2, v0, v1
	v_fma_f32 v0, v16, s20, -v0
	v_fmac_f32_e32 v0, 0xb2a5705f, v16
	v_add_f32_e32 v0, v2, v0
	v_exp_f32_e32 v2, v0
	v_cvt_i32_f32_e32 v3, v1
	s_mov_b32 s20, 0x42ce8ed0
	v_cmp_nlt_f32_e32 vcc, s20, v16
	s_mov_b32 s20, 0xc2b17218
	v_ldexp_f32 v2, v2, v3
	v_mov_b32_e32 v1, 0x3d586f6b
	v_mov_b32_e32 v0, v16
	v_cndmask_b32_e32 v2, 0, v2, vcc
	v_mov_b32_e32 v3, 0x7f800000
	v_cmp_ngt_f32_e32 vcc, s20, v16
	v_pk_add_f32 v[0:1], v[16:17], v[0:1]
	v_cndmask_b32_e32 v2, v3, v2, vcc
	v_fmac_f32_e32 v2, v0, v1
	v_sub_f32_e32 v0, v2, v1
	v_div_scale_f32 v3, s[20:21], v0, v0, v1
	v_rcp_f32_e32 v4, v3
	v_mov_b32_e32 v9, 0
	v_fma_f32 v5, -v3, v4, 1.0
	v_fmac_f32_e32 v4, v5, v4
	v_div_scale_f32 v5, vcc, v1, v0, v1
	v_mul_f32_e32 v6, v5, v4
	v_fma_f32 v7, -v3, v6, v5
	v_fmac_f32_e32 v6, v7, v4
	v_fma_f32 v3, -v3, v6, v5
	v_div_fmas_f32 v3, v3, v4, v6
	v_div_fixup_f32 v8, v3, v0, v1
	buffer_store_dword v8, off, s[0:3], s32 offset:392 ; 4-byte Folded Spill
	s_nop 0
	buffer_store_dword v9, off, s[0:3], s32 offset:396 ; 4-byte Folded Spill
	buffer_store_dword v10, off, s[0:3], s32 offset:400 ; 4-byte Folded Spill
	;; [unrolled: 1-line block ×6, first 2 shown]
.LBB0_417:
	s_or_b64 exec, exec, s[18:19]
	v_mov_b32_e32 v20, 0
	v_mov_b32_e32 v5, 0
.LBB0_418:
	s_or_b64 exec, exec, s[16:17]
	s_or_b64 exec, exec, s[4:5]
                                        ; implicit-def: $vgpr16
.LBB0_419:
	s_andn2_saveexec_b64 s[4:5], s[14:15]
	s_cbranch_execz .LBB0_469
.LBB0_420:
	v_accvgpr_read_b32 v0, a16
	v_add_f32_e32 v4, -2.0, v16
	v_cmp_lt_i32_e32 vcc, 0, v0
                                        ; implicit-def: $vgpr0_vgpr1
	buffer_store_dword v0, off, s[0:3], s32 offset:392 ; 4-byte Folded Spill
	s_nop 0
	buffer_store_dword v1, off, s[0:3], s32 offset:396 ; 4-byte Folded Spill
	buffer_store_dword v2, off, s[0:3], s32 offset:400 ; 4-byte Folded Spill
	;; [unrolled: 1-line block ×6, first 2 shown]
                                        ; implicit-def: $vgpr21
                                        ; implicit-def: $vgpr2
                                        ; implicit-def: $vgpr5
	s_and_saveexec_b64 s[14:15], vcc
	s_xor_b64 s[14:15], exec, s[14:15]
	s_cbranch_execz .LBB0_428
; %bb.421:
	v_accvgpr_read_b32 v0, a16
	v_cmp_lt_i32_e32 vcc, 1, v0
                                        ; implicit-def: $vgpr0_vgpr1
	buffer_store_dword v0, off, s[0:3], s32 offset:392 ; 4-byte Folded Spill
	s_nop 0
	buffer_store_dword v1, off, s[0:3], s32 offset:396 ; 4-byte Folded Spill
	buffer_store_dword v2, off, s[0:3], s32 offset:400 ; 4-byte Folded Spill
	;; [unrolled: 1-line block ×6, first 2 shown]
                                        ; implicit-def: $vgpr21
                                        ; implicit-def: $vgpr2
                                        ; implicit-def: $vgpr5
	s_and_saveexec_b64 s[16:17], vcc
	s_xor_b64 s[16:17], exec, s[16:17]
	s_cbranch_execz .LBB0_425
; %bb.422:
	s_mov_b32 s18, 0
	v_accvgpr_read_b32 v0, a16
	s_mov_b32 s19, s18
	v_cmp_eq_u32_e32 vcc, 2, v0
	v_pk_mov_b32 v[0:1], s[18:19], s[18:19] op_sel:[0,1]
	buffer_store_dword v0, off, s[0:3], s32 offset:392 ; 4-byte Folded Spill
	s_nop 0
	buffer_store_dword v1, off, s[0:3], s32 offset:396 ; 4-byte Folded Spill
	buffer_store_dword v2, off, s[0:3], s32 offset:400 ; 4-byte Folded Spill
	buffer_store_dword v3, off, s[0:3], s32 offset:404 ; 4-byte Folded Spill
	buffer_store_dword v4, off, s[0:3], s32 offset:408 ; 4-byte Folded Spill
	buffer_store_dword v5, off, s[0:3], s32 offset:412 ; 4-byte Folded Spill
	buffer_store_dword v6, off, s[0:3], s32 offset:416 ; 4-byte Folded Spill
	v_mov_b32_e32 v21, 0
	v_mov_b32_e32 v20, 0
	;; [unrolled: 1-line block ×4, first 2 shown]
	s_and_saveexec_b64 s[18:19], vcc
	s_cbranch_execz .LBB0_424
; %bb.423:
	v_mov_b32_e32 v0, 0x2caabff3
	s_mov_b32 s20, 0xb0341271
	v_fmac_f32_e32 v0, 0x2bcba156, v4
	v_mov_b32_e32 v1, 0x303f4e21
	s_mov_b32 s21, 0xb1b7ebe3
	v_pk_fma_f32 v[0:1], v[4:5], v[0:1], s[20:21] op_sel_hi:[0,1,1]
	s_mov_b32 s20, 0x32868327
	s_mov_b32 s21, 0xb390da29
	v_pk_fma_f32 v[0:1], v[4:5], v[0:1], s[20:21] op_sel_hi:[0,1,1]
	s_mov_b32 s20, 0xb48ba6f7
	;; [unrolled: 3-line block ×7, first 2 shown]
	s_mov_b32 s21, 0x3f12ecf6
	v_pk_fma_f32 v[12:13], v[4:5], v[0:1], s[20:21] op_sel_hi:[0,1,1]
	v_mov_b32_e32 v0, 0x31781e01
	v_fmac_f32_e32 v0, 0xaf9ac11f, v4
	v_mov_b32_e32 v1, 0x3342d558
	v_fmac_f32_e32 v1, v4, v0
	v_mov_b32_e32 v0, 0xb4175e0b
	v_fmac_f32_e32 v0, v4, v1
	v_mov_b32_e32 v1, 0xb6cb4b75
	v_fmac_f32_e32 v1, v4, v0
	v_mov_b32_e32 v0, 0xb8586938
	v_fmac_f32_e32 v0, v4, v1
	v_mov_b32_e32 v1, 0x380c68c0
	v_fmac_f32_e32 v1, v4, v0
	v_mov_b32_e32 v0, 0x30f4db6f
	v_fmac_f32_e32 v0, 0xaf22c6bf, v4
	v_mov_b32_e32 v2, 0xb2a55e4f
	v_fmac_f32_e32 v2, v4, v0
	v_mov_b32_e32 v0, 0x344f05bc
	v_fmac_f32_e32 v0, v4, v2
	v_mov_b32_e32 v2, 0xb5e9477a
	v_fmac_f32_e32 v2, v4, v0
	v_mov_b32_e32 v0, 0x376987df
	v_fmac_f32_e32 v0, v4, v2
	v_mov_b32_e32 v2, 0xb8cc6214
	v_fmac_f32_e32 v2, v4, v0
	v_mov_b32_e32 v0, 0x3a19038b
	v_fmac_f32_e32 v0, v4, v2
	v_mov_b32_e32 v2, 0xbb3e0676
	v_fmac_f32_e32 v2, v4, v0
	v_mov_b32_e32 v0, 0x3c3a86e5
	v_fmac_f32_e32 v0, v4, v2
	v_mul_f32_e32 v2, 0xbfb8aa3b, v16
	s_mov_b32 s20, 0xbfb8aa3b
	v_rndne_f32_e32 v3, v2
	v_sub_f32_e32 v6, v2, v3
	v_fma_f32 v2, v16, s20, -v2
	v_fmac_f32_e32 v2, 0xb2a5705f, v16
	v_add_f32_e32 v2, v6, v2
	v_exp_f32_e32 v2, v2
	v_cvt_i32_f32_e32 v3, v3
	v_mov_b32_e32 v6, 0xbd047be0
	s_mov_b32 s20, 0x42ce8ed0
	v_fmac_f32_e32 v6, v4, v0
	v_ldexp_f32 v0, v2, v3
	v_cmp_nlt_f32_e32 vcc, s20, v16
	s_mov_b32 s20, 0xc2b17218
	v_cndmask_b32_e32 v0, 0, v0, vcc
	v_mov_b32_e32 v2, 0x7f800000
	v_cmp_ngt_f32_e32 vcc, s20, v16
	v_mul_f32_e32 v17, v4, v6
	v_cndmask_b32_e32 v0, v2, v0, vcc
	v_mov_b32_e32 v3, 0x3d58da91
	v_mov_b32_e32 v2, v16
	v_pk_add_f32 v[2:3], v[16:17], v[2:3]
	v_fma_f32 v6, v2, v3, v0
	s_mov_b32 s22, 0x40400000
	v_div_scale_f32 v7, s[20:21], s22, s22, v6
	v_rcp_f32_e32 v8, v7
	v_mov_b32_e32 v5, 0x3d4ecb90
	v_fmac_f32_e32 v5, v4, v1
	v_mov_b32_e32 v1, 0xbf532020
	v_fmac_f32_e32 v1, v4, v5
	;; [unrolled: 2-line block ×3, first 2 shown]
	v_fma_f32 v1, -v7, v8, 1.0
	v_fmac_f32_e32 v8, v1, v8
	v_div_scale_f32 v1, vcc, v6, s22, v6
	v_mul_f32_e32 v4, v1, v8
	v_fma_f32 v9, -v7, v4, v1
	v_fmac_f32_e32 v4, v9, v8
	v_fma_f32 v1, -v7, v4, v1
	v_add_f32_e32 v7, 1.0, v5
	v_div_scale_f32 v9, s[20:21], v7, v7, v5
	v_rcp_f32_e32 v10, v9
	v_div_fmas_f32 v1, v1, v8, v4
	v_div_fixup_f32 v6, v1, s22, v6
	v_fmac_f32_e32 v0, v2, v6
	v_fma_f32 v1, -v9, v10, 1.0
	v_fmac_f32_e32 v10, v1, v10
	v_div_scale_f32 v1, vcc, v5, v7, v5
	v_mul_f32_e32 v2, v1, v10
	v_fma_f32 v4, -v9, v2, v1
	v_fmac_f32_e32 v2, v4, v10
	v_fma_f32 v1, -v9, v2, v1
	v_pk_add_f32 v[8:9], v[12:13], 1.0 op_sel_hi:[1,0]
	v_div_scale_f32 v4, s[20:21], v9, v9, v13
	v_rcp_f32_e32 v11, v4
	v_div_fmas_f32 v1, v1, v10, v2
	v_div_fixup_f32 v2, v1, v7, v5
	v_fma_f32 v1, -v4, v11, 1.0
	v_fmac_f32_e32 v11, v1, v11
	v_div_scale_f32 v1, vcc, v13, v9, v13
	v_mul_f32_e32 v7, v1, v11
	v_fma_f32 v10, -v4, v7, v1
	v_fmac_f32_e32 v7, v10, v11
	v_fma_f32 v1, -v4, v7, v1
	v_div_scale_f32 v4, s[20:21], v8, v8, v12
	v_rcp_f32_e32 v10, v4
	v_div_fmas_f32 v1, v1, v11, v7
	v_div_fixup_f32 v9, v1, v9, v13
	v_fma_f32 v1, -v4, v10, 1.0
	v_fmac_f32_e32 v10, v1, v10
	v_div_scale_f32 v1, vcc, v12, v8, v12
	v_mul_f32_e32 v7, v1, v10
	v_fma_f32 v11, -v4, v7, v1
	v_fmac_f32_e32 v7, v11, v10
	v_fma_f32 v1, -v4, v7, v1
	v_div_fmas_f32 v1, v1, v10, v7
	v_pk_mov_b32 v[10:11], v[12:13], v[12:13] op_sel:[0,1]
	buffer_store_dword v10, off, s[0:3], s32 offset:392 ; 4-byte Folded Spill
	s_nop 0
	buffer_store_dword v11, off, s[0:3], s32 offset:396 ; 4-byte Folded Spill
	buffer_store_dword v12, off, s[0:3], s32 offset:400 ; 4-byte Folded Spill
	;; [unrolled: 1-line block ×6, first 2 shown]
	v_mov_b32_e32 v7, v9
	v_div_fixup_f32 v8, v1, v8, v12
	v_mul_f32_e32 v10, v8, v0
	v_mov_b32_e32 v11, v8
	v_fma_f32 v1, -v8, v6, v3
	v_pk_add_f32 v[12:13], v[2:3], v[8:9] op_sel_hi:[0,1] neg_lo:[0,1] neg_hi:[0,1]
	v_pk_add_f32 v[6:7], v[6:7], v[10:11] neg_lo:[0,1] neg_hi:[0,1]
	v_mul_f32_e32 v4, v13, v12
	v_fma_f32 v8, -v9, v6, v1
	v_div_scale_f32 v3, s[20:21], v4, v4, v8
	v_rcp_f32_e32 v9, v3
	v_fma_f32 v10, -v3, v9, 1.0
	v_fmac_f32_e32 v9, v10, v9
	v_div_scale_f32 v10, vcc, v8, v4, v8
	v_mul_f32_e32 v11, v10, v9
	v_fma_f32 v12, -v3, v11, v10
	v_fmac_f32_e32 v11, v12, v9
	v_fma_f32 v10, -v3, v11, v10
	v_mov_b32_e32 v3, v13
	v_pk_mul_f32 v[2:3], v[2:3], v[6:7]
	v_sub_f32_e32 v1, v2, v1
	v_div_scale_f32 v2, s[20:21], v3, v3, v1
	v_rcp_f32_e32 v6, v2
	v_div_fmas_f32 v7, v10, v9, v11
	v_div_fixup_f32 v21, v7, v4, v8
	v_fma_f32 v4, -v2, v6, 1.0
	v_fmac_f32_e32 v6, v4, v6
	v_div_scale_f32 v4, vcc, v1, v3, v1
	v_mul_f32_e32 v7, v4, v6
	v_fma_f32 v8, -v2, v7, v4
	v_fmac_f32_e32 v7, v8, v6
	v_fma_f32 v2, -v2, v7, v4
	v_div_fmas_f32 v2, v2, v6, v7
	v_div_fixup_f32 v20, v2, v3, v1
	v_sub_f32_e32 v0, v0, v20
	v_sub_f32_e32 v2, v0, v21
.LBB0_424:
	s_or_b64 exec, exec, s[18:19]
                                        ; implicit-def: $vgpr4
                                        ; implicit-def: $vgpr16
.LBB0_425:
	s_andn2_saveexec_b64 s[16:17], s[16:17]
	s_cbranch_execz .LBB0_427
; %bb.426:
	v_mov_b32_e32 v0, 0x3106d68d
	v_fmac_f32_e32 v0, 0xaf31cb49, v4
	v_mov_b32_e32 v1, 0xb2b806a8
	v_fmac_f32_e32 v1, v4, v0
	;; [unrolled: 2-line block ×10, first 2 shown]
	v_mul_f32_e32 v0, 0xbfb8aa3b, v16
	v_mul_f32_e32 v17, v4, v1
	s_mov_b32 s18, 0xbfb8aa3b
	v_rndne_f32_e32 v1, v0
	v_sub_f32_e32 v2, v0, v1
	v_fma_f32 v0, v16, s18, -v0
	v_fmac_f32_e32 v0, 0xb2a5705f, v16
	v_add_f32_e32 v0, v2, v0
	v_exp_f32_e32 v5, v0
	v_cvt_i32_f32_e32 v6, v1
	v_mov_b32_e32 v1, 0x3decf544
	v_mov_b32_e32 v0, v16
	s_mov_b32 s18, 0x42ce8ed0
	v_pk_add_f32 v[2:3], v[16:17], v[0:1]
	v_ldexp_f32 v0, v5, v6
	v_cmp_nlt_f32_e32 vcc, s18, v16
	s_mov_b32 s18, 0xc2b17218
	v_cndmask_b32_e32 v0, 0, v0, vcc
	v_mov_b32_e32 v1, 0x7f800000
	v_cmp_ngt_f32_e32 vcc, s18, v16
	v_cndmask_b32_e32 v5, v1, v0, vcc
	v_mov_b32_e32 v0, 0x2eba5957
	v_fmac_f32_e32 v0, 0xace01337, v4
	v_mov_b32_e32 v1, 0xb00d9f71
	v_fmac_f32_e32 v1, v4, v0
	v_mov_b32_e32 v0, 0xafd37520
	v_fmac_f32_e32 v0, v4, v1
	v_mov_b32_e32 v1, 0x33b5f0b5
	v_fmac_f32_e32 v1, v4, v0
	v_mul_f32_e32 v0, v4, v1
	v_mov_b32_e32 v1, 0x310e536f
	v_fmac_f32_e32 v5, v2, v3
	v_fmac_f32_e32 v1, 0x2f1fcb23, v4
	v_mov_b32_e32 v2, 0xb2a165e8
	v_fmac_f32_e32 v2, v4, v1
	v_mov_b32_e32 v1, 0xb4394f7d
	;; [unrolled: 2-line block ×3, first 2 shown]
	v_fmac_f32_e32 v2, v4, v1
	s_mov_b32 s18, 0xb5f8b6ab
	v_mul_f32_e32 v1, v4, v2
	s_mov_b32 s19, 0x3723e08c
	v_pk_add_f32 v[0:1], v[0:1], s[18:19]
	s_mov_b32 s18, 0x37cf5c03
	s_mov_b32 s19, 0xb94a8b33
	v_pk_fma_f32 v[0:1], v[4:5], v[0:1], s[18:19] op_sel_hi:[0,1,1]
	s_mov_b32 s18, 0xb9828eac
	s_mov_b32 s19, 0xbacf2d86
	v_pk_fma_f32 v[0:1], v[4:5], v[0:1], s[18:19] op_sel_hi:[0,1,1]
	;; [unrolled: 3-line block ×5, first 2 shown]
	v_sub_f32_e32 v0, v3, v5
	v_fmac_f32_e32 v3, v6, v0
	v_add_f32_e32 v0, 1.0, v7
	v_mul_f32_e32 v0, v0, v3
	v_pk_mov_b32 v[2:3], v[6:7], v[6:7] op_sel:[0,1]
	buffer_store_dword v2, off, s[0:3], s32 offset:392 ; 4-byte Folded Spill
	s_nop 0
	buffer_store_dword v3, off, s[0:3], s32 offset:396 ; 4-byte Folded Spill
	buffer_store_dword v4, off, s[0:3], s32 offset:400 ; 4-byte Folded Spill
	;; [unrolled: 1-line block ×6, first 2 shown]
	v_mov_b32_e32 v21, 0
	v_sub_f32_e32 v1, v7, v6
	v_div_scale_f32 v2, s[18:19], v1, v1, v0
	v_rcp_f32_e32 v3, v2
	v_fma_f32 v4, -v2, v3, 1.0
	v_fmac_f32_e32 v3, v4, v3
	v_div_scale_f32 v4, vcc, v0, v1, v0
	v_mul_f32_e32 v6, v4, v3
	v_fma_f32 v7, -v2, v6, v4
	v_fmac_f32_e32 v6, v7, v3
	v_fma_f32 v2, -v2, v6, v4
	v_div_fmas_f32 v2, v2, v3, v6
	v_div_fixup_f32 v20, v2, v1, v0
	v_sub_f32_e32 v2, v5, v20
	v_mov_b32_e32 v5, 0
.LBB0_427:
	s_or_b64 exec, exec, s[16:17]
                                        ; implicit-def: $vgpr4
                                        ; implicit-def: $vgpr16
.LBB0_428:
	s_andn2_saveexec_b64 s[14:15], s[14:15]
	s_cbranch_execz .LBB0_432
; %bb.429:
	s_mov_b32 s16, 0
	v_accvgpr_read_b32 v0, a16
	s_mov_b32 s17, s16
	v_cmp_eq_u32_e32 vcc, 0, v0
	v_pk_mov_b32 v[0:1], s[16:17], s[16:17] op_sel:[0,1]
	buffer_store_dword v0, off, s[0:3], s32 offset:392 ; 4-byte Folded Spill
	s_nop 0
	buffer_store_dword v1, off, s[0:3], s32 offset:396 ; 4-byte Folded Spill
	buffer_store_dword v2, off, s[0:3], s32 offset:400 ; 4-byte Folded Spill
	;; [unrolled: 1-line block ×6, first 2 shown]
	v_mov_b32_e32 v21, 0
	v_mov_b32_e32 v2, 0
	s_and_saveexec_b64 s[16:17], vcc
	s_cbranch_execz .LBB0_431
; %bb.430:
	v_mov_b32_e32 v0, 0x3106d68d
	v_fmac_f32_e32 v0, 0xaf31cb49, v4
	v_mov_b32_e32 v1, 0xb2b806a8
	v_fmac_f32_e32 v1, v4, v0
	;; [unrolled: 2-line block ×10, first 2 shown]
	v_mul_f32_e32 v0, 0xbfb8aa3b, v16
	v_mul_f32_e32 v17, v4, v1
	s_mov_b32 s18, 0xbfb8aa3b
	v_rndne_f32_e32 v1, v0
	v_sub_f32_e32 v2, v0, v1
	v_fma_f32 v0, v16, s18, -v0
	v_fmac_f32_e32 v0, 0xb2a5705f, v16
	v_add_f32_e32 v0, v2, v0
	v_exp_f32_e32 v2, v0
	v_cvt_i32_f32_e32 v3, v1
	s_mov_b32 s18, 0x42ce8ed0
	v_cmp_nlt_f32_e32 vcc, s18, v16
	s_mov_b32 s18, 0xc2b17218
	v_ldexp_f32 v2, v2, v3
	v_mov_b32_e32 v1, 0x3decf544
	v_mov_b32_e32 v0, v16
	v_cndmask_b32_e32 v2, 0, v2, vcc
	v_mov_b32_e32 v3, 0x7f800000
	v_cmp_ngt_f32_e32 vcc, s18, v16
	v_pk_add_f32 v[0:1], v[16:17], v[0:1]
	v_cndmask_b32_e32 v2, v3, v2, vcc
	v_fmac_f32_e32 v2, v0, v1
	v_sub_f32_e32 v0, v2, v1
	v_div_scale_f32 v3, s[18:19], v0, v0, v1
	v_rcp_f32_e32 v4, v3
	v_mov_b32_e32 v9, 0
	v_fma_f32 v5, -v3, v4, 1.0
	v_fmac_f32_e32 v4, v5, v4
	v_div_scale_f32 v5, vcc, v1, v0, v1
	v_mul_f32_e32 v6, v5, v4
	v_fma_f32 v7, -v3, v6, v5
	v_fmac_f32_e32 v6, v7, v4
	v_fma_f32 v3, -v3, v6, v5
	v_div_fmas_f32 v3, v3, v4, v6
	v_div_fixup_f32 v8, v3, v0, v1
	buffer_store_dword v8, off, s[0:3], s32 offset:392 ; 4-byte Folded Spill
	s_nop 0
	buffer_store_dword v9, off, s[0:3], s32 offset:396 ; 4-byte Folded Spill
	buffer_store_dword v10, off, s[0:3], s32 offset:400 ; 4-byte Folded Spill
	buffer_store_dword v11, off, s[0:3], s32 offset:404 ; 4-byte Folded Spill
	buffer_store_dword v12, off, s[0:3], s32 offset:408 ; 4-byte Folded Spill
	buffer_store_dword v13, off, s[0:3], s32 offset:412 ; 4-byte Folded Spill
	buffer_store_dword v14, off, s[0:3], s32 offset:416 ; 4-byte Folded Spill
.LBB0_431:
	s_or_b64 exec, exec, s[16:17]
	v_mov_b32_e32 v20, 0
	v_mov_b32_e32 v5, 0
.LBB0_432:
	s_or_b64 exec, exec, s[14:15]
	s_or_b64 exec, exec, s[4:5]
                                        ; implicit-def: $vgpr16
.LBB0_433:
	s_andn2_saveexec_b64 s[4:5], s[12:13]
	s_cbranch_execz .LBB0_470
.LBB0_434:
	v_accvgpr_read_b32 v0, a16
	v_cmp_lt_i32_e32 vcc, 0, v0
                                        ; implicit-def: $vgpr0_vgpr1
	buffer_store_dword v0, off, s[0:3], s32 offset:392 ; 4-byte Folded Spill
	s_nop 0
	buffer_store_dword v1, off, s[0:3], s32 offset:396 ; 4-byte Folded Spill
	buffer_store_dword v2, off, s[0:3], s32 offset:400 ; 4-byte Folded Spill
	;; [unrolled: 1-line block ×6, first 2 shown]
                                        ; implicit-def: $vgpr21
                                        ; implicit-def: $vgpr2
                                        ; implicit-def: $vgpr5
	s_and_saveexec_b64 s[12:13], vcc
	s_xor_b64 s[12:13], exec, s[12:13]
	s_cbranch_execz .LBB0_442
; %bb.435:
	v_accvgpr_read_b32 v0, a16
	v_cmp_lt_i32_e32 vcc, 1, v0
                                        ; implicit-def: $vgpr0_vgpr1
	buffer_store_dword v0, off, s[0:3], s32 offset:392 ; 4-byte Folded Spill
	s_nop 0
	buffer_store_dword v1, off, s[0:3], s32 offset:396 ; 4-byte Folded Spill
	buffer_store_dword v2, off, s[0:3], s32 offset:400 ; 4-byte Folded Spill
	buffer_store_dword v3, off, s[0:3], s32 offset:404 ; 4-byte Folded Spill
	buffer_store_dword v4, off, s[0:3], s32 offset:408 ; 4-byte Folded Spill
	buffer_store_dword v5, off, s[0:3], s32 offset:412 ; 4-byte Folded Spill
	buffer_store_dword v6, off, s[0:3], s32 offset:416 ; 4-byte Folded Spill
                                        ; implicit-def: $vgpr21
                                        ; implicit-def: $vgpr2
                                        ; implicit-def: $vgpr5
	s_and_saveexec_b64 s[14:15], vcc
	s_xor_b64 s[14:15], exec, s[14:15]
	s_cbranch_execz .LBB0_439
; %bb.436:
	s_mov_b32 s16, 0
	v_accvgpr_read_b32 v0, a16
	s_mov_b32 s17, s16
	v_cmp_eq_u32_e32 vcc, 2, v0
	v_pk_mov_b32 v[0:1], s[16:17], s[16:17] op_sel:[0,1]
	buffer_store_dword v0, off, s[0:3], s32 offset:392 ; 4-byte Folded Spill
	s_nop 0
	buffer_store_dword v1, off, s[0:3], s32 offset:396 ; 4-byte Folded Spill
	buffer_store_dword v2, off, s[0:3], s32 offset:400 ; 4-byte Folded Spill
	;; [unrolled: 1-line block ×6, first 2 shown]
	v_mov_b32_e32 v21, 0
	v_mov_b32_e32 v20, 0
	;; [unrolled: 1-line block ×4, first 2 shown]
	s_and_saveexec_b64 s[16:17], vcc
	s_cbranch_execz .LBB0_438
; %bb.437:
	s_mov_b32 s18, 0xb00c3d32
	s_mov_b32 s19, 0xb25ebb25
	v_mov_b32_e32 v0, 0x32ce461e
	v_mov_b32_e32 v1, 0x33a65836
	v_pk_fma_f32 v[0:1], v[16:17], s[18:19], v[0:1] op_sel_hi:[0,1,1]
	s_mov_b32 s18, 0xb5068207
	s_mov_b32 s19, 0x35d16908
	v_pk_fma_f32 v[0:1], v[16:17], v[0:1], s[18:19] op_sel_hi:[0,1,1]
	s_mov_b32 s18, 0x36fe70ba
	s_mov_b32 s19, 0xb7849568
	;; [unrolled: 3-line block ×6, first 2 shown]
	v_pk_fma_f32 v[12:13], v[16:17], v[0:1], s[18:19] op_sel_hi:[0,1,1]
	v_mov_b32_e32 v0, 0xb4a28ea1
	v_fmac_f32_e32 v0, 0xb21f8577, v16
	v_mov_b32_e32 v1, 0xb62843db
	v_fmac_f32_e32 v1, v16, v0
	;; [unrolled: 2-line block ×11, first 2 shown]
	v_mul_f32_e32 v2, 0xbfb8aa3b, v16
	s_mov_b32 s18, 0xbfb8aa3b
	v_rndne_f32_e32 v3, v2
	v_sub_f32_e32 v5, v2, v3
	v_fma_f32 v2, v16, s18, -v2
	v_fmac_f32_e32 v2, 0xb2a5705f, v16
	v_add_f32_e32 v2, v5, v2
	v_exp_f32_e32 v2, v2
	v_cvt_i32_f32_e32 v3, v3
	v_mov_b32_e32 v5, 0xbe124925
	s_mov_b32 s18, 0x42ce8ed0
	v_fmac_f32_e32 v5, v16, v0
	v_ldexp_f32 v0, v2, v3
	v_cmp_nlt_f32_e32 vcc, s18, v16
	s_mov_b32 s18, 0xc2b17218
	v_cndmask_b32_e32 v0, 0, v0, vcc
	v_mov_b32_e32 v2, 0x7f800000
	v_cmp_ngt_f32_e32 vcc, s18, v16
	v_mul_f32_e32 v17, v16, v5
	v_cndmask_b32_e32 v0, v2, v0, vcc
	v_mov_b32_e32 v3, 0x3e4ccccd
	v_mov_b32_e32 v2, v16
	v_pk_add_f32 v[2:3], v[16:17], v[2:3]
	v_fma_f32 v6, v2, v3, v0
	s_mov_b32 s20, 0x40400000
	v_div_scale_f32 v7, s[18:19], s20, s20, v6
	v_rcp_f32_e32 v8, v7
	v_mov_b32_e32 v4, 0x3d4aa72f
	v_fmac_f32_e32 v4, v16, v1
	v_mov_b32_e32 v1, 0xbf8334b6
	v_fmac_f32_e32 v1, v16, v4
	;; [unrolled: 2-line block ×3, first 2 shown]
	v_fma_f32 v1, -v7, v8, 1.0
	v_fmac_f32_e32 v8, v1, v8
	v_div_scale_f32 v1, vcc, v6, s20, v6
	v_mul_f32_e32 v4, v1, v8
	v_fma_f32 v9, -v7, v4, v1
	v_fmac_f32_e32 v4, v9, v8
	v_fma_f32 v1, -v7, v4, v1
	v_add_f32_e32 v7, 1.0, v5
	v_div_scale_f32 v9, s[18:19], v7, v7, v5
	v_rcp_f32_e32 v10, v9
	v_div_fmas_f32 v1, v1, v8, v4
	v_div_fixup_f32 v6, v1, s20, v6
	v_fmac_f32_e32 v0, v2, v6
	v_fma_f32 v1, -v9, v10, 1.0
	v_fmac_f32_e32 v10, v1, v10
	v_div_scale_f32 v1, vcc, v5, v7, v5
	v_mul_f32_e32 v2, v1, v10
	v_fma_f32 v4, -v9, v2, v1
	v_fmac_f32_e32 v2, v4, v10
	v_fma_f32 v1, -v9, v2, v1
	v_pk_add_f32 v[8:9], v[12:13], 1.0 op_sel_hi:[1,0]
	v_div_scale_f32 v4, s[18:19], v9, v9, v13
	v_rcp_f32_e32 v11, v4
	v_div_fmas_f32 v1, v1, v10, v2
	v_div_fixup_f32 v2, v1, v7, v5
	v_fma_f32 v1, -v4, v11, 1.0
	v_fmac_f32_e32 v11, v1, v11
	v_div_scale_f32 v1, vcc, v13, v9, v13
	v_mul_f32_e32 v7, v1, v11
	v_fma_f32 v10, -v4, v7, v1
	v_fmac_f32_e32 v7, v10, v11
	v_fma_f32 v1, -v4, v7, v1
	v_div_scale_f32 v4, s[18:19], v8, v8, v12
	v_rcp_f32_e32 v10, v4
	v_div_fmas_f32 v1, v1, v11, v7
	v_div_fixup_f32 v9, v1, v9, v13
	v_fma_f32 v1, -v4, v10, 1.0
	v_fmac_f32_e32 v10, v1, v10
	v_div_scale_f32 v1, vcc, v12, v8, v12
	v_mul_f32_e32 v7, v1, v10
	v_fma_f32 v11, -v4, v7, v1
	v_fmac_f32_e32 v7, v11, v10
	v_fma_f32 v1, -v4, v7, v1
	v_div_fmas_f32 v1, v1, v10, v7
	v_pk_mov_b32 v[10:11], v[12:13], v[12:13] op_sel:[0,1]
	buffer_store_dword v10, off, s[0:3], s32 offset:392 ; 4-byte Folded Spill
	s_nop 0
	buffer_store_dword v11, off, s[0:3], s32 offset:396 ; 4-byte Folded Spill
	buffer_store_dword v12, off, s[0:3], s32 offset:400 ; 4-byte Folded Spill
	buffer_store_dword v13, off, s[0:3], s32 offset:404 ; 4-byte Folded Spill
	buffer_store_dword v14, off, s[0:3], s32 offset:408 ; 4-byte Folded Spill
	buffer_store_dword v15, off, s[0:3], s32 offset:412 ; 4-byte Folded Spill
	buffer_store_dword v16, off, s[0:3], s32 offset:416 ; 4-byte Folded Spill
	v_mov_b32_e32 v7, v9
	v_div_fixup_f32 v8, v1, v8, v12
	v_mul_f32_e32 v10, v8, v0
	v_mov_b32_e32 v11, v8
	v_fma_f32 v1, -v8, v6, v3
	v_pk_add_f32 v[12:13], v[2:3], v[8:9] op_sel_hi:[0,1] neg_lo:[0,1] neg_hi:[0,1]
	v_pk_add_f32 v[6:7], v[6:7], v[10:11] neg_lo:[0,1] neg_hi:[0,1]
	v_mul_f32_e32 v4, v13, v12
	v_fma_f32 v8, -v9, v6, v1
	v_div_scale_f32 v3, s[18:19], v4, v4, v8
	v_rcp_f32_e32 v9, v3
	v_fma_f32 v10, -v3, v9, 1.0
	v_fmac_f32_e32 v9, v10, v9
	v_div_scale_f32 v10, vcc, v8, v4, v8
	v_mul_f32_e32 v11, v10, v9
	v_fma_f32 v12, -v3, v11, v10
	v_fmac_f32_e32 v11, v12, v9
	v_fma_f32 v10, -v3, v11, v10
	v_mov_b32_e32 v3, v13
	v_pk_mul_f32 v[2:3], v[2:3], v[6:7]
	v_sub_f32_e32 v1, v2, v1
	v_div_scale_f32 v2, s[18:19], v3, v3, v1
	v_rcp_f32_e32 v6, v2
	v_div_fmas_f32 v7, v10, v9, v11
	v_div_fixup_f32 v21, v7, v4, v8
	v_fma_f32 v4, -v2, v6, 1.0
	v_fmac_f32_e32 v6, v4, v6
	v_div_scale_f32 v4, vcc, v1, v3, v1
	v_mul_f32_e32 v7, v4, v6
	v_fma_f32 v8, -v2, v7, v4
	v_fmac_f32_e32 v7, v8, v6
	v_fma_f32 v2, -v2, v7, v4
	v_div_fmas_f32 v2, v2, v6, v7
	v_div_fixup_f32 v20, v2, v3, v1
	v_sub_f32_e32 v0, v0, v20
	v_sub_f32_e32 v2, v0, v21
.LBB0_438:
	s_or_b64 exec, exec, s[16:17]
                                        ; implicit-def: $vgpr16
.LBB0_439:
	s_andn2_saveexec_b64 s[14:15], s[14:15]
	s_cbranch_execz .LBB0_441
; %bb.440:
	v_mov_b32_e32 v0, 0x35a2b3c5
	v_fmac_f32_e32 v0, 0xb3b398d8, v16
	v_mov_b32_e32 v1, 0xb7420cb6
	v_fmac_f32_e32 v1, v16, v0
	;; [unrolled: 2-line block ×8, first 2 shown]
	v_mul_f32_e32 v0, 0xbfb8aa3b, v16
	v_mul_f32_e32 v17, v16, v1
	s_mov_b32 s16, 0xbfb8aa3b
	v_rndne_f32_e32 v1, v0
	v_sub_f32_e32 v2, v0, v1
	v_fma_f32 v0, v16, s16, -v0
	v_fmac_f32_e32 v0, 0xb2a5705f, v16
	v_add_f32_e32 v0, v2, v0
	v_exp_f32_e32 v4, v0
	v_cvt_i32_f32_e32 v5, v1
	v_mov_b32_e32 v1, 0x3eaaaaab
	v_mov_b32_e32 v0, v16
	s_mov_b32 s16, 0x42ce8ed0
	v_pk_add_f32 v[2:3], v[16:17], v[0:1]
	v_ldexp_f32 v0, v4, v5
	v_cmp_nlt_f32_e32 vcc, s16, v16
	s_mov_b32 s16, 0xc2b17218
	v_cndmask_b32_e32 v0, 0, v0, vcc
	v_mov_b32_e32 v1, 0x7f800000
	v_cmp_ngt_f32_e32 vcc, s16, v16
	s_mov_b32 s16, 0xb121a6de
	v_cndmask_b32_e32 v4, v1, v0, vcc
	s_mov_b32 s17, 0xb2d484ea
	v_mov_b32_e32 v0, 0x32d609dd
	v_mov_b32_e32 v1, 0x347e45d0
	v_pk_fma_f32 v[0:1], v[16:17], s[16:17], v[0:1] op_sel_hi:[0,1,1]
	s_mov_b32 s16, 0xb343c735
	s_mov_b32 s17, 0x35f656c1
	v_pk_fma_f32 v[0:1], v[16:17], v[0:1], s[16:17] op_sel_hi:[0,1,1]
	s_mov_b32 s16, 0xb6243b79
	s_mov_b32 s17, 0xb7ad52a3
	;; [unrolled: 3-line block ×6, first 2 shown]
	v_pk_fma_f32 v[0:1], v[16:17], v[0:1], s[16:17] op_sel_hi:[0,1,1]
	s_mov_b32 s16, 0x3e05d48b
	v_fmac_f32_e32 v4, v2, v3
	s_mov_b32 s17, 0x4037a2b7
	v_pk_fma_f32 v[6:7], v[16:17], v[0:1], s[16:17] op_sel_hi:[0,1,1]
	v_sub_f32_e32 v0, v3, v4
	v_fmac_f32_e32 v3, v6, v0
	v_add_f32_e32 v0, 1.0, v7
	v_mul_f32_e32 v0, v0, v3
	v_pk_mov_b32 v[2:3], v[6:7], v[6:7] op_sel:[0,1]
	buffer_store_dword v2, off, s[0:3], s32 offset:392 ; 4-byte Folded Spill
	s_nop 0
	buffer_store_dword v3, off, s[0:3], s32 offset:396 ; 4-byte Folded Spill
	buffer_store_dword v4, off, s[0:3], s32 offset:400 ; 4-byte Folded Spill
	buffer_store_dword v5, off, s[0:3], s32 offset:404 ; 4-byte Folded Spill
	buffer_store_dword v6, off, s[0:3], s32 offset:408 ; 4-byte Folded Spill
	buffer_store_dword v7, off, s[0:3], s32 offset:412 ; 4-byte Folded Spill
	buffer_store_dword v8, off, s[0:3], s32 offset:416 ; 4-byte Folded Spill
	v_mov_b32_e32 v21, 0
	v_sub_f32_e32 v1, v7, v6
	v_div_scale_f32 v2, s[16:17], v1, v1, v0
	v_rcp_f32_e32 v3, v2
	v_fma_f32 v5, -v2, v3, 1.0
	v_fmac_f32_e32 v3, v5, v3
	v_div_scale_f32 v5, vcc, v0, v1, v0
	v_mul_f32_e32 v6, v5, v3
	v_fma_f32 v7, -v2, v6, v5
	v_fmac_f32_e32 v6, v7, v3
	v_fma_f32 v2, -v2, v6, v5
	v_div_fmas_f32 v2, v2, v3, v6
	v_div_fixup_f32 v20, v2, v1, v0
	v_sub_f32_e32 v2, v4, v20
	v_mov_b32_e32 v5, 0
.LBB0_441:
	s_or_b64 exec, exec, s[14:15]
                                        ; implicit-def: $vgpr16
.LBB0_442:
	s_andn2_saveexec_b64 s[12:13], s[12:13]
	s_cbranch_execz .LBB0_446
; %bb.443:
	s_mov_b32 s14, 0
	v_accvgpr_read_b32 v0, a16
	s_mov_b32 s15, s14
	v_cmp_eq_u32_e32 vcc, 0, v0
	v_pk_mov_b32 v[0:1], s[14:15], s[14:15] op_sel:[0,1]
	buffer_store_dword v0, off, s[0:3], s32 offset:392 ; 4-byte Folded Spill
	s_nop 0
	buffer_store_dword v1, off, s[0:3], s32 offset:396 ; 4-byte Folded Spill
	buffer_store_dword v2, off, s[0:3], s32 offset:400 ; 4-byte Folded Spill
	buffer_store_dword v3, off, s[0:3], s32 offset:404 ; 4-byte Folded Spill
	buffer_store_dword v4, off, s[0:3], s32 offset:408 ; 4-byte Folded Spill
	buffer_store_dword v5, off, s[0:3], s32 offset:412 ; 4-byte Folded Spill
	buffer_store_dword v6, off, s[0:3], s32 offset:416 ; 4-byte Folded Spill
	v_mov_b32_e32 v21, 0
	v_mov_b32_e32 v2, 0
	s_and_saveexec_b64 s[14:15], vcc
	s_cbranch_execz .LBB0_445
; %bb.444:
	v_mov_b32_e32 v0, 0x35a2b3c5
	v_fmac_f32_e32 v0, 0xb3b398d8, v16
	v_mov_b32_e32 v1, 0xb7420cb6
	v_fmac_f32_e32 v1, v16, v0
	;; [unrolled: 2-line block ×8, first 2 shown]
	v_mul_f32_e32 v0, 0xbfb8aa3b, v16
	v_mul_f32_e32 v17, v16, v1
	s_mov_b32 s16, 0xbfb8aa3b
	v_rndne_f32_e32 v1, v0
	v_sub_f32_e32 v2, v0, v1
	v_fma_f32 v0, v16, s16, -v0
	v_fmac_f32_e32 v0, 0xb2a5705f, v16
	v_add_f32_e32 v0, v2, v0
	v_exp_f32_e32 v2, v0
	v_cvt_i32_f32_e32 v3, v1
	s_mov_b32 s16, 0x42ce8ed0
	v_cmp_nlt_f32_e32 vcc, s16, v16
	s_mov_b32 s16, 0xc2b17218
	v_ldexp_f32 v2, v2, v3
	v_mov_b32_e32 v1, 0x3eaaaaab
	v_mov_b32_e32 v0, v16
	v_cndmask_b32_e32 v2, 0, v2, vcc
	v_mov_b32_e32 v3, 0x7f800000
	v_cmp_ngt_f32_e32 vcc, s16, v16
	v_pk_add_f32 v[0:1], v[16:17], v[0:1]
	v_cndmask_b32_e32 v2, v3, v2, vcc
	v_fmac_f32_e32 v2, v0, v1
	v_sub_f32_e32 v0, v2, v1
	v_div_scale_f32 v3, s[16:17], v0, v0, v1
	v_rcp_f32_e32 v4, v3
	v_mov_b32_e32 v9, 0
	v_fma_f32 v5, -v3, v4, 1.0
	v_fmac_f32_e32 v4, v5, v4
	v_div_scale_f32 v5, vcc, v1, v0, v1
	v_mul_f32_e32 v6, v5, v4
	v_fma_f32 v7, -v3, v6, v5
	v_fmac_f32_e32 v6, v7, v4
	v_fma_f32 v3, -v3, v6, v5
	v_div_fmas_f32 v3, v3, v4, v6
	v_div_fixup_f32 v8, v3, v0, v1
	buffer_store_dword v8, off, s[0:3], s32 offset:392 ; 4-byte Folded Spill
	s_nop 0
	buffer_store_dword v9, off, s[0:3], s32 offset:396 ; 4-byte Folded Spill
	buffer_store_dword v10, off, s[0:3], s32 offset:400 ; 4-byte Folded Spill
	;; [unrolled: 1-line block ×6, first 2 shown]
.LBB0_445:
	s_or_b64 exec, exec, s[14:15]
	v_mov_b32_e32 v20, 0
	v_mov_b32_e32 v5, 0
.LBB0_446:
	s_or_b64 exec, exec, s[12:13]
	s_or_b64 exec, exec, s[4:5]
                                        ; implicit-def: $vgpr16
.LBB0_447:
	s_andn2_saveexec_b64 s[4:5], s[10:11]
	s_cbranch_execz .LBB0_461
.LBB0_448:
	v_accvgpr_read_b32 v0, a16
	v_cmp_lt_i32_e32 vcc, 0, v0
                                        ; implicit-def: $vgpr0_vgpr1
	buffer_store_dword v0, off, s[0:3], s32 offset:392 ; 4-byte Folded Spill
	s_nop 0
	buffer_store_dword v1, off, s[0:3], s32 offset:396 ; 4-byte Folded Spill
	buffer_store_dword v2, off, s[0:3], s32 offset:400 ; 4-byte Folded Spill
	;; [unrolled: 1-line block ×6, first 2 shown]
                                        ; implicit-def: $vgpr21
                                        ; implicit-def: $vgpr2
                                        ; implicit-def: $vgpr5
	s_and_saveexec_b64 s[10:11], vcc
	s_xor_b64 s[10:11], exec, s[10:11]
	s_cbranch_execz .LBB0_456
; %bb.449:
	v_accvgpr_read_b32 v0, a16
	v_cmp_lt_i32_e32 vcc, 1, v0
                                        ; implicit-def: $vgpr0_vgpr1
	buffer_store_dword v0, off, s[0:3], s32 offset:392 ; 4-byte Folded Spill
	s_nop 0
	buffer_store_dword v1, off, s[0:3], s32 offset:396 ; 4-byte Folded Spill
	buffer_store_dword v2, off, s[0:3], s32 offset:400 ; 4-byte Folded Spill
	;; [unrolled: 1-line block ×6, first 2 shown]
                                        ; implicit-def: $vgpr21
                                        ; implicit-def: $vgpr2
                                        ; implicit-def: $vgpr5
	s_and_saveexec_b64 s[12:13], vcc
	s_xor_b64 s[12:13], exec, s[12:13]
	s_cbranch_execz .LBB0_453
; %bb.450:
	s_mov_b32 s14, 0
	v_accvgpr_read_b32 v0, a16
	s_mov_b32 s15, s14
	v_cmp_eq_u32_e32 vcc, 2, v0
	v_pk_mov_b32 v[0:1], s[14:15], s[14:15] op_sel:[0,1]
	buffer_store_dword v0, off, s[0:3], s32 offset:392 ; 4-byte Folded Spill
	s_nop 0
	buffer_store_dword v1, off, s[0:3], s32 offset:396 ; 4-byte Folded Spill
	buffer_store_dword v2, off, s[0:3], s32 offset:400 ; 4-byte Folded Spill
	;; [unrolled: 1-line block ×6, first 2 shown]
	v_mov_b32_e32 v21, 0
	v_mov_b32_e32 v20, 0
	;; [unrolled: 1-line block ×4, first 2 shown]
	s_and_saveexec_b64 s[14:15], vcc
	s_cbranch_execz .LBB0_452
; %bb.451:
	s_mov_b32 s16, 0xbc182fe0
	s_mov_b32 s17, 0xbdf4c255
	v_mov_b32_e32 v0, 0x3d774dcb
	v_mov_b32_e32 v1, 0x3f46dde5
	v_pk_fma_f32 v[0:1], v[16:17], s[16:17], v[0:1] op_sel_hi:[0,1,1]
	buffer_store_dword v0, off, s[0:3], s32 offset:392 ; 4-byte Folded Spill
	s_nop 0
	buffer_store_dword v1, off, s[0:3], s32 offset:396 ; 4-byte Folded Spill
	buffer_store_dword v2, off, s[0:3], s32 offset:400 ; 4-byte Folded Spill
	;; [unrolled: 1-line block ×6, first 2 shown]
	v_mov_b32_e32 v5, 0x40d535a8
	v_mov_b32_e32 v2, 0x3eef926a
	;; [unrolled: 1-line block ×4, first 2 shown]
	v_fmac_f32_e32 v5, 0xbf8334b6, v16
	v_fmac_f32_e32 v2, 0xbd675fa3, v16
	;; [unrolled: 1-line block ×4, first 2 shown]
.LBB0_452:
	s_or_b64 exec, exec, s[14:15]
                                        ; implicit-def: $vgpr16
.LBB0_453:
	s_andn2_saveexec_b64 s[12:13], s[12:13]
	s_cbranch_execz .LBB0_455
; %bb.454:
	s_mov_b32 s14, 0xbcedeba3
	s_mov_b32 s15, 0xbf233b4e
	v_mov_b32_e32 v0, 0x3e05d48b
	v_mov_b32_e32 v1, 0x4037a2b7
	v_pk_fma_f32 v[0:1], v[16:17], s[14:15], v[0:1] op_sel_hi:[0,1,1]
	buffer_store_dword v0, off, s[0:3], s32 offset:392 ; 4-byte Folded Spill
	s_nop 0
	buffer_store_dword v1, off, s[0:3], s32 offset:396 ; 4-byte Folded Spill
	buffer_store_dword v2, off, s[0:3], s32 offset:400 ; 4-byte Folded Spill
	;; [unrolled: 1-line block ×6, first 2 shown]
	v_mov_b32_e32 v2, 0x3f26f2fc
	v_mov_b32_e32 v20, 0x3eb21a08
	v_fmac_f32_e32 v2, 0xbdfb5148, v16
	v_fmac_f32_e32 v20, 0xbe57acb2, v16
	v_mov_b32_e32 v21, 0
	v_mov_b32_e32 v5, 0
.LBB0_455:
	s_or_b64 exec, exec, s[12:13]
                                        ; implicit-def: $vgpr16
.LBB0_456:
	s_andn2_saveexec_b64 s[10:11], s[10:11]
	s_cbranch_execz .LBB0_460
; %bb.457:
	s_mov_b32 s12, 0
	v_accvgpr_read_b32 v0, a16
	s_mov_b32 s13, s12
	v_cmp_eq_u32_e32 vcc, 0, v0
	v_pk_mov_b32 v[0:1], s[12:13], s[12:13] op_sel:[0,1]
	buffer_store_dword v0, off, s[0:3], s32 offset:392 ; 4-byte Folded Spill
	s_nop 0
	buffer_store_dword v1, off, s[0:3], s32 offset:396 ; 4-byte Folded Spill
	buffer_store_dword v2, off, s[0:3], s32 offset:400 ; 4-byte Folded Spill
	buffer_store_dword v3, off, s[0:3], s32 offset:404 ; 4-byte Folded Spill
	buffer_store_dword v4, off, s[0:3], s32 offset:408 ; 4-byte Folded Spill
	buffer_store_dword v5, off, s[0:3], s32 offset:412 ; 4-byte Folded Spill
	buffer_store_dword v6, off, s[0:3], s32 offset:416 ; 4-byte Folded Spill
	v_mov_b32_e32 v21, 0
	v_mov_b32_e32 v2, 0
	s_and_saveexec_b64 s[12:13], vcc
	s_cbranch_execz .LBB0_459
; %bb.458:
	s_mov_b32 s16, 0xc0a00000
	v_div_scale_f32 v0, s[14:15], s16, s16, v16
	v_rcp_f32_e32 v1, v0
	v_div_scale_f32 v2, vcc, v16, s16, v16
	s_mov_b32 s17, 0xc0400000
	v_fma_f32 v3, -v0, v1, 1.0
	v_fmac_f32_e32 v1, v3, v1
	v_mul_f32_e32 v3, v2, v1
	v_fma_f32 v4, -v0, v3, v2
	v_fmac_f32_e32 v3, v4, v1
	v_fma_f32 v0, -v0, v3, v2
	v_div_scale_f32 v2, s[14:15], s17, s17, v16
	v_rcp_f32_e32 v4, v2
	v_div_fmas_f32 v0, v0, v1, v3
	v_div_fixup_f32 v0, v0, s16, v16
	v_add_f32_e32 v6, 0.5, v0
	v_fma_f32 v0, -v2, v4, 1.0
	v_fmac_f32_e32 v4, v0, v4
	v_div_scale_f32 v0, vcc, v16, s17, v16
	v_mul_f32_e32 v1, v0, v4
	v_fma_f32 v3, -v2, v1, v0
	v_fmac_f32_e32 v1, v3, v4
	v_fma_f32 v0, -v2, v1, v0
	v_div_fmas_f32 v0, v0, v4, v1
	v_div_fixup_f32 v0, v0, s17, v16
	v_add_f32_e32 v2, 1.0, v0
	v_mov_b32_e32 v7, 0
	buffer_store_dword v6, off, s[0:3], s32 offset:392 ; 4-byte Folded Spill
	s_nop 0
	buffer_store_dword v7, off, s[0:3], s32 offset:396 ; 4-byte Folded Spill
	buffer_store_dword v8, off, s[0:3], s32 offset:400 ; 4-byte Folded Spill
	;; [unrolled: 1-line block ×6, first 2 shown]
.LBB0_459:
	s_or_b64 exec, exec, s[12:13]
	v_mov_b32_e32 v20, 0
	v_mov_b32_e32 v5, 0
.LBB0_460:
	s_or_b64 exec, exec, s[10:11]
.LBB0_461:
	s_or_b64 exec, exec, s[4:5]
	v_cmp_lt_i32_e32 vcc, 1, v24
	buffer_store_dword v2, off, s[0:3], s32 offset:160
	s_and_saveexec_b64 s[4:5], vcc
	s_cbranch_execz .LBB0_463
; %bb.462:
	buffer_store_dword v20, off, s[0:3], s32 offset:164
.LBB0_463:
	s_or_b64 exec, exec, s[4:5]
	v_and_b32_e32 v0, -2, v24
	v_cmp_eq_u32_e32 vcc, 4, v0
	s_mov_b64 s[4:5], s[6:7]
                                        ; implicit-def: $vgpr0
	s_and_saveexec_b64 s[10:11], vcc
; %bb.464:
	v_lshrrev_b32_e64 v0, 6, s32
	v_add_u32_e32 v0, 0xa0, v0
	v_or_b32_e32 v0, 8, v0
	s_or_b64 s[4:5], s[6:7], exec
; %bb.465:
	s_or_b64 exec, exec, s[10:11]
	s_andn2_b64 s[6:7], s[6:7], exec
	s_and_b64 s[4:5], s[4:5], exec
	v_mov_b32_e32 v2, v5
	s_or_b64 s[6:7], s[6:7], s[4:5]
	buffer_store_dword v0, off, s[0:3], s32 offset:448 ; 4-byte Folded Spill
	s_nop 0
	buffer_store_dword v1, off, s[0:3], s32 offset:452 ; 4-byte Folded Spill
	buffer_store_dword v2, off, s[0:3], s32 offset:456 ; 4-byte Folded Spill
	;; [unrolled: 1-line block ×6, first 2 shown]
                                        ; implicit-def: $vgpr2_vgpr3_vgpr4_vgpr5_vgpr6_vgpr7_vgpr8
                                        ; kill: killed $vgpr2_vgpr3_vgpr4_vgpr5_vgpr6_vgpr7_vgpr8
	s_or_b64 exec, exec, s[8:9]
	s_and_saveexec_b64 s[4:5], s[6:7]
	s_cbranch_execnz .LBB0_83
	s_branch .LBB0_84
.LBB0_466:
	s_or_b64 exec, exec, s[98:99]
	buffer_load_dword v8, off, s[0:3], s32 offset:388 ; 4-byte Folded Reload
	v_readlane_b32 s6, v61, 0
	v_readlane_b32 s7, v61, 1
	v_accvgpr_read_b32 v26, a14
.LBB0_467:
	s_or_b64 exec, exec, s[6:7]
	buffer_load_dword a55, off, s[0:3], s32 ; 4-byte Folded Reload
	buffer_load_dword a54, off, s[0:3], s32 offset:4 ; 4-byte Folded Reload
	buffer_load_dword a53, off, s[0:3], s32 offset:8 ; 4-byte Folded Reload
	;; [unrolled: 1-line block ×36, first 2 shown]
	s_mov_b32 s4, 0xf800000
	v_accvgpr_read_b32 v2, a8
	v_mul_f32_e32 v1, 0x4f800000, v26
	v_cmp_gt_f32_e32 vcc, s4, v26
	v_accvgpr_read_b32 v3, a9
	v_cndmask_b32_e32 v1, v26, v1, vcc
	v_cvt_f32_f64_e32 v0, v[2:3]
	v_sqrt_f32_e32 v2, v1
	v_accvgpr_read_b32 v4, a6
	v_accvgpr_read_b32 v5, a7
	v_cvt_f32_f64_e32 v3, v[4:5]
	v_accvgpr_read_b32 v4, a4
	v_accvgpr_read_b32 v7, a3
	;; [unrolled: 1-line block ×4, first 2 shown]
	v_cvt_f32_f64_e32 v4, v[4:5]
	v_cvt_f32_f64_e32 v5, v[6:7]
	v_add_u32_e32 v6, -1, v2
	v_fma_f32 v7, -v6, v2, v1
	v_cmp_ge_f32_e64 s[4:5], 0, v7
	v_add_u32_e32 v7, 1, v2
	v_cndmask_b32_e64 v6, v2, v6, s[4:5]
	v_fma_f32 v2, -v7, v2, v1
	v_cmp_lt_f32_e64 s[4:5], 0, v2
	v_cndmask_b32_e64 v2, v6, v7, s[4:5]
	v_mul_f32_e32 v6, 0x37800000, v2
	v_cndmask_b32_e32 v2, v2, v6, vcc
	v_mov_b32_e32 v6, 0x260
	v_cmp_class_f32_e32 vcc, v1, v6
	v_cndmask_b32_e32 v1, v2, v1, vcc
	v_mul_f32_e32 v1, 0x3f906ebb, v1
	v_mul_f32_e32 v1, v1, v5
	;; [unrolled: 1-line block ×5, first 2 shown]
	v_readlane_b32 s30, v62, 2
	s_waitcnt vmcnt(37)
	v_mul_f32_e32 v0, v0, v8
	v_readlane_b32 s31, v62, 3
	v_readlane_b32 s99, v62, 1
	;; [unrolled: 1-line block ×67, first 2 shown]
	s_or_saveexec_b64 s[4:5], -1
	buffer_load_dword v63, off, s[0:3], s32 offset:476 ; 4-byte Folded Reload
	buffer_load_dword v62, off, s[0:3], s32 offset:480 ; 4-byte Folded Reload
	;; [unrolled: 1-line block ×3, first 2 shown]
	s_mov_b64 exec, s[4:5]
	s_waitcnt vmcnt(0)
	s_setpc_b64 s[30:31]
.LBB0_468:
	s_or_b64 exec, exec, s[4:5]
                                        ; implicit-def: $vgpr16
	s_andn2_saveexec_b64 s[4:5], s[14:15]
	s_cbranch_execnz .LBB0_420
.LBB0_469:
	s_or_b64 exec, exec, s[4:5]
                                        ; implicit-def: $vgpr16
	s_andn2_saveexec_b64 s[4:5], s[12:13]
	s_cbranch_execnz .LBB0_434
.LBB0_470:
	s_or_b64 exec, exec, s[4:5]
                                        ; implicit-def: $vgpr16
	s_andn2_saveexec_b64 s[4:5], s[10:11]
	s_cbranch_execnz .LBB0_448
	s_branch .LBB0_461
.Lfunc_end0:
	.size	_Z12cuda_rys_pbfPKdS0_S0_S0_, .Lfunc_end0-_Z12cuda_rys_pbfPKdS0_S0_S0_
                                        ; -- End function
	.section	.AMDGPU.csdata,"",@progbits
; Function info:
; codeLenInByte = 70332
; NumSgprs: 104
; NumVgprs: 64
; NumAgprs: 56
; TotalNumVgprs: 120
; ScratchSize: 496
; MemoryBound: 0
	.text
	.protected	_Z13cuda_mat_J_PIPKdPKiiS0_PdS0_ ; -- Begin function _Z13cuda_mat_J_PIPKdPKiiS0_PdS0_
	.globl	_Z13cuda_mat_J_PIPKdPKiiS0_PdS0_
	.p2align	8
	.type	_Z13cuda_mat_J_PIPKdPKiiS0_PdS0_,@function
_Z13cuda_mat_J_PIPKdPKiiS0_PdS0_:       ; @_Z13cuda_mat_J_PIPKdPKiiS0_PdS0_
; %bb.0:
	s_load_dword s11, s[4:5], 0x10
	s_add_u32 flat_scratch_lo, s6, s10
	s_addc_u32 flat_scratch_hi, s7, 0
	s_add_u32 s0, s0, s10
	s_addc_u32 s1, s1, 0
	s_mov_b32 s12, s8
	s_waitcnt lgkmcnt(0)
	s_cmp_ge_i32 s8, s11
	s_mov_b32 s8, s9
                                        ; implicit-def: $vgpr60 : SGPR spill to VGPR lane
	s_mov_b32 s10, s9
	v_writelane_b32 v60, s8, 0
	v_writelane_b32 v60, s9, 1
	s_mov_b32 s8, s12
	s_cselect_b64 s[6:7], -1, 0
	v_writelane_b32 v60, s8, 2
	s_cmp_gt_i32 s10, s12
	v_writelane_b32 v60, s9, 3
	s_cselect_b64 s[8:9], -1, 0
	s_or_b64 s[6:7], s[8:9], s[6:7]
	s_and_b64 vcc, exec, s[6:7]
	s_mov_b32 s32, 0
	s_cbranch_vccnz .LBB1_12
; %bb.1:
	s_load_dwordx2 s[6:7], s[4:5], 0x20
	v_and_b32_e32 v42, 0x3ff, v0
	v_lshlrev_b32_e32 v1, 3, v42
	v_bfe_u32 v43, v0, 10, 10
	v_mov_b32_e32 v47, 0
	s_waitcnt lgkmcnt(0)
	v_writelane_b32 v60, s6, 4
	v_writelane_b32 v60, s7, 5
	v_add_lshl_u32 v44, v1, v43, 3
	v_mov_b32_e32 v46, v47
	ds_write_b64 v44, v[46:47]
	v_writelane_b32 v60, s11, 6
	v_cmp_gt_i32_e32 vcc, s11, v42
	s_mov_b64 s[6:7], exec
	v_writelane_b32 v60, s6, 7
	v_writelane_b32 v60, s7, 8
	s_and_b64 s[6:7], s[6:7], vcc
	s_mov_b64 exec, s[6:7]
	s_cbranch_execz .LBB1_10
; %bb.2:
	s_load_dwordx4 s[12:15], s[4:5], 0x0
	s_load_dwordx2 s[16:17], s[4:5], 0x18
	v_readlane_b32 s6, v60, 2
	v_readlane_b32 s7, v60, 3
	s_mov_b32 s8, s6
	s_lshl_b32 s6, s6, 3
	s_ashr_i32 s7, s6, 31
	s_lshl_b64 s[6:7], s[6:7], 3
	s_waitcnt lgkmcnt(0)
	s_add_u32 s6, s12, s6
	v_writelane_b32 v60, s6, 9
	s_addc_u32 s6, s13, s7
	v_writelane_b32 v60, s6, 10
	v_readlane_b32 s6, v60, 0
	v_readlane_b32 s7, v60, 1
	s_mov_b32 s10, s6
	s_lshl_b32 s6, s6, 3
	s_ashr_i32 s7, s6, 31
	s_lshl_b64 s[6:7], s[6:7], 3
	s_add_u32 s6, s12, s6
	v_writelane_b32 v60, s6, 11
	s_mov_b32 s6, s8
	s_addc_u32 s33, s13, s7
	s_ashr_i32 s9, s8, 31
	v_writelane_b32 v60, s6, 2
	v_writelane_b32 v60, s7, 3
	s_lshl_b64 s[6:7], s[8:9], 2
	s_add_u32 s6, s14, s6
	s_mov_b32 s8, s10
	s_addc_u32 s7, s15, s7
	s_ashr_i32 s11, s10, 31
	v_writelane_b32 v60, s8, 0
	v_writelane_b32 v60, s9, 1
	s_lshl_b64 s[8:9], s[10:11], 2
	s_add_u32 s8, s14, s8
	s_addc_u32 s9, s15, s9
	s_load_dword s10, s[6:7], 0x0
	s_load_dword s11, s[8:9], 0x0
	s_load_dwordx2 s[18:19], s[4:5], 0x28
	v_lshlrev_b32_e32 v0, 2, v43
	v_mov_b32_e32 v45, s15
	v_add_co_u32_e32 v64, vcc, s14, v0
	s_waitcnt lgkmcnt(0)
	s_max_i32 s4, s10, s11
	s_add_i32 s5, s4, 1
	s_mul_i32 s4, s5, s4
	s_lshr_b32 s5, s4, 31
	s_add_i32 s4, s4, s5
	s_ashr_i32 s4, s4, 1
	s_min_i32 s5, s10, s11
	s_add_i32 s4, s4, s5
	s_ashr_i32 s5, s4, 31
	s_lshl_b64 s[4:5], s[4:5], 3
	s_add_u32 s4, s18, s4
	s_addc_u32 s5, s19, s5
	v_writelane_b32 v60, s4, 12
	v_writelane_b32 v60, s5, 13
	s_mov_b64 s[4:5], s[12:13]
	s_mov_b32 s6, s14
	v_writelane_b32 v60, s4, 14
	v_writelane_b32 v60, s5, 15
	;; [unrolled: 1-line block ×5, first 2 shown]
	s_mov_b32 s8, 0x97d889bc
	v_writelane_b32 v60, s17, 19
	v_addc_co_u32_e32 v65, vcc, 0, v45, vcc
	v_lshlrev_b32_e32 v56, 3, v43
	s_mov_b64 s[6:7], 0
	v_pk_mov_b32 v[66:67], 0, 0
	s_mov_b32 s9, 0x3c9cd2b2
	v_mov_b32_e32 v57, 0x3ff00000
	v_mov_b32_e32 v68, v42
	v_writelane_b32 v60, s18, 20
	v_writelane_b32 v60, s19, 21
	s_branch .LBB1_5
.LBB1_3:                                ;   in Loop: Header=BB1_5 Depth=1
	s_or_b64 exec, exec, s[6:7]
	v_readlane_b32 s6, v60, 24
	v_readlane_b32 s7, v60, 25
.LBB1_4:                                ;   in Loop: Header=BB1_5 Depth=1
	v_readlane_b32 s4, v60, 22
	v_readlane_b32 s5, v60, 23
	s_or_b64 exec, exec, s[4:5]
	v_add_u32_e32 v68, 8, v68
	v_readlane_b32 s4, v60, 6
	v_cmp_le_i32_e32 vcc, s4, v68
	s_or_b64 s[6:7], vcc, s[6:7]
	s_andn2_b64 exec, exec, s[6:7]
	s_cbranch_execz .LBB1_10
.LBB1_5:                                ; =>This Loop Header: Depth=1
                                        ;     Child Loop BB1_8 Depth 2
	v_cmp_le_u32_e32 vcc, v43, v68
	s_mov_b64 s[4:5], exec
	v_writelane_b32 v60, s4, 22
	v_writelane_b32 v60, s5, 23
	s_and_b64 s[4:5], s[4:5], vcc
	s_mov_b64 exec, s[4:5]
	s_cbranch_execz .LBB1_4
; %bb.6:                                ;   in Loop: Header=BB1_5 Depth=1
	v_writelane_b32 v60, s6, 24
	v_writelane_b32 v60, s7, 25
	v_mov_b32_e32 v69, v47
	v_readlane_b32 s4, v60, 14
	v_lshlrev_b64 v[0:1], 2, v[68:69]
	v_readlane_b32 s6, v60, 16
	v_add_co_u32_e32 v0, vcc, s6, v0
	v_addc_co_u32_e32 v1, vcc, v45, v1, vcc
	global_load_dword v58, v[0:1], off
	v_lshlrev_b32_e32 v46, 3, v68
	v_readlane_b32 s5, v60, 15
	v_lshlrev_b64 v[0:1], 3, v[46:47]
	v_mov_b32_e32 v2, s5
	v_add_co_u32_e32 v40, vcc, s4, v0
	v_readlane_b32 s4, v60, 12
	v_readlane_b32 s5, v60, 13
	s_load_dwordx2 s[10:11], s[4:5], 0x0
	v_readlane_b32 s7, v60, 17
	v_addc_co_u32_e32 v41, vcc, v2, v1, vcc
	s_mov_b64 s[6:7], 0
	v_mov_b32_e32 v46, v56
	v_pk_mov_b32 v[70:71], v[64:65], v[64:65] op_sel:[0,1]
	v_mov_b32_e32 v59, v43
	s_waitcnt lgkmcnt(0)
	v_writelane_b32 v60, s10, 26
	v_writelane_b32 v60, s11, 27
	s_branch .LBB1_8
.LBB1_7:                                ;   in Loop: Header=BB1_8 Depth=2
	s_or_b64 exec, exec, s[12:13]
	v_add_co_u32_e32 v70, vcc, 32, v70
	v_add_u32_e32 v59, 8, v59
	v_addc_co_u32_e32 v71, vcc, 0, v71, vcc
	v_cmp_gt_u32_e32 vcc, v59, v68
	s_or_b64 s[6:7], vcc, s[6:7]
	v_add_u32_e32 v46, 64, v46
	s_andn2_b64 exec, exec, s[6:7]
	s_cbranch_execz .LBB1_3
.LBB1_8:                                ;   Parent Loop BB1_5 Depth=1
                                        ; =>  This Inner Loop Header: Depth=2
	global_load_dword v0, v[70:71], off
	v_mov_b32_e32 v3, s19
	v_mov_b32_e32 v4, s17
	s_waitcnt vmcnt(0)
	v_min_i32_e32 v2, v58, v0
	v_max_i32_e32 v0, v58, v0
	v_mad_u64_u32 v[0:1], s[4:5], v0, v0, v[0:1]
	v_lshrrev_b32_e32 v1, 31, v0
	v_add_u32_e32 v0, v0, v1
	v_ashrrev_i32_e32 v0, 1, v0
	v_add_u32_e32 v0, v0, v2
	v_ashrrev_i32_e32 v1, 31, v0
	v_lshlrev_b64 v[0:1], 3, v[0:1]
	v_add_co_u32_e32 v2, vcc, s18, v0
	v_addc_co_u32_e32 v3, vcc, v3, v1, vcc
	v_add_co_u32_e32 v0, vcc, s16, v0
	global_load_dwordx2 v[2:3], v[2:3], off
	v_addc_co_u32_e32 v1, vcc, v4, v1, vcc
	global_load_dwordx2 v[72:73], v[0:1], off
	s_waitcnt vmcnt(1)
	v_mul_f64 v[0:1], s[10:11], v[2:3]
	s_waitcnt vmcnt(0)
	v_mul_f64 v[0:1], v[0:1], v[72:73]
	v_cmp_nlt_f64_e64 s[4:5], |v[0:1]|, s[8:9]
	s_and_saveexec_b64 s[12:13], s[4:5]
	s_cbranch_execz .LBB1_7
; %bb.9:                                ;   in Loop: Header=BB1_8 Depth=2
	v_writelane_b32 v60, s6, 28
	v_writelane_b32 v60, s7, 29
	v_readlane_b32 s4, v60, 14
	v_readlane_b32 s6, v60, 16
	v_lshlrev_b64 v[0:1], 3, v[46:47]
	v_readlane_b32 s5, v60, 15
	v_readlane_b32 s6, v60, 9
	v_mov_b32_e32 v2, s5
	v_add_co_u32_e32 v6, vcc, s4, v0
	v_mov_b32_e32 v0, s6
	v_readlane_b32 s6, v60, 10
	v_addc_co_u32_e32 v7, vcc, v2, v1, vcc
	v_mov_b32_e32 v1, s6
	v_readlane_b32 s6, v60, 11
	v_readlane_b32 s7, v60, 17
	v_mov_b32_e32 v2, s6
	v_mov_b32_e32 v3, s33
	;; [unrolled: 1-line block ×4, first 2 shown]
	v_writelane_b32 v60, s12, 30
	s_getpc_b64 s[4:5]
	s_add_u32 s4, s4, _Z12cuda_rys_pbfPKdS0_S0_S0_@rel32@lo+4
	s_addc_u32 s5, s5, _Z12cuda_rys_pbfPKdS0_S0_S0_@rel32@hi+12
	v_writelane_b32 v60, s13, 31
	s_swappc_b64 s[30:31], s[4:5]
	v_cvt_f64_f32_e32 v[0:1], v0
	v_cmp_eq_u32_e32 vcc, v68, v59
	v_readlane_b32 s12, v60, 30
	v_readlane_b32 s10, v60, 26
	;; [unrolled: 1-line block ×3, first 2 shown]
	s_mov_b32 s8, 0x97d889bc
	v_readlane_b32 s18, v60, 20
	v_readlane_b32 s16, v60, 18
	v_mul_f64 v[0:1], v[72:73], v[0:1]
	v_cndmask_b32_e32 v3, 2.0, v57, vcc
	v_mov_b32_e32 v2, v47
	v_readlane_b32 s13, v60, 31
	v_readlane_b32 s11, v60, 27
	;; [unrolled: 1-line block ×3, first 2 shown]
	s_mov_b32 s9, 0x3c9cd2b2
	v_readlane_b32 s19, v60, 21
	v_readlane_b32 s17, v60, 19
	v_fmac_f64_e32 v[66:67], v[2:3], v[0:1]
	ds_write_b64 v44, v[66:67]
	s_branch .LBB1_7
.LBB1_10:
	v_readlane_b32 s4, v60, 7
	v_readlane_b32 s5, v60, 8
	s_or_b64 exec, exec, s[4:5]
	v_or_b32_e32 v0, v42, v43
	v_cmp_eq_u32_e32 vcc, 0, v0
	s_waitcnt lgkmcnt(0)
	s_barrier
	s_and_saveexec_b64 s[4:5], vcc
	s_cbranch_execz .LBB1_12
; %bb.11:
	v_mov_b32_e32 v0, 0
	ds_read_b128 v[2:5], v0
	ds_read_b128 v[6:9], v0 offset:16
	ds_read_b128 v[10:13], v0 offset:32
	;; [unrolled: 1-line block ×3, first 2 shown]
	v_readlane_b32 s4, v60, 2
	s_mov_b32 s6, s4
	s_add_i32 s4, s4, 1
	s_waitcnt lgkmcnt(3)
	v_add_f64 v[2:3], v[2:3], 0
	v_add_f64 v[2:3], v[4:5], v[2:3]
	s_waitcnt lgkmcnt(2)
	v_add_f64 v[2:3], v[6:7], v[2:3]
	v_add_f64 v[2:3], v[8:9], v[2:3]
	s_waitcnt lgkmcnt(1)
	v_add_f64 v[6:7], v[10:11], v[2:3]
	ds_read_b128 v[2:5], v0 offset:64
	v_add_f64 v[6:7], v[12:13], v[6:7]
	s_waitcnt lgkmcnt(1)
	v_add_f64 v[10:11], v[14:15], v[6:7]
	ds_read_b128 v[6:9], v0 offset:80
	;; [unrolled: 4-line block ×25, first 2 shown]
	v_add_f64 v[6:7], v[8:9], v[6:7]
	s_waitcnt lgkmcnt(1)
	v_add_f64 v[6:7], v[10:11], v[6:7]
	v_add_f64 v[10:11], v[12:13], v[6:7]
	ds_read_b128 v[6:9], v0 offset:464
	v_readlane_b32 s5, v60, 3
	s_mul_i32 s4, s4, s6
	s_waitcnt lgkmcnt(1)
	v_add_f64 v[2:3], v[2:3], v[10:11]
	ds_read_b128 v[10:13], v0 offset:480
	s_lshr_b32 s5, s4, 31
	s_add_i32 s4, s4, s5
	v_add_f64 v[14:15], v[4:5], v[2:3]
	ds_read_b128 v[2:5], v0 offset:496
	s_ashr_i32 s4, s4, 1
	v_readlane_b32 s6, v60, 0
	s_waitcnt lgkmcnt(2)
	v_add_f64 v[6:7], v[6:7], v[14:15]
	s_add_i32 s4, s4, s6
	v_add_f64 v[6:7], v[8:9], v[6:7]
	v_readlane_b32 s7, v60, 1
	s_ashr_i32 s5, s4, 31
	s_waitcnt lgkmcnt(1)
	v_add_f64 v[6:7], v[10:11], v[6:7]
	s_lshl_b64 s[4:5], s[4:5], 3
	v_readlane_b32 s6, v60, 4
	v_add_f64 v[6:7], v[12:13], v[6:7]
	v_readlane_b32 s7, v60, 5
	s_add_u32 s4, s6, s4
	s_waitcnt lgkmcnt(0)
	v_add_f64 v[2:3], v[2:3], v[6:7]
	s_addc_u32 s5, s7, s5
	v_add_f64 v[2:3], v[4:5], v[2:3]
	global_store_dwordx2 v0, v[2:3], s[4:5]
.LBB1_12:
	s_endpgm
	.section	.rodata,"a",@progbits
	.p2align	6, 0x0
	.amdhsa_kernel _Z13cuda_mat_J_PIPKdPKiiS0_PdS0_
		.amdhsa_group_segment_fixed_size 512
		.amdhsa_private_segment_fixed_size 496
		.amdhsa_kernarg_size 48
		.amdhsa_user_sgpr_count 8
		.amdhsa_user_sgpr_private_segment_buffer 1
		.amdhsa_user_sgpr_dispatch_ptr 0
		.amdhsa_user_sgpr_queue_ptr 0
		.amdhsa_user_sgpr_kernarg_segment_ptr 1
		.amdhsa_user_sgpr_dispatch_id 0
		.amdhsa_user_sgpr_flat_scratch_init 1
		.amdhsa_user_sgpr_kernarg_preload_length 0
		.amdhsa_user_sgpr_kernarg_preload_offset 0
		.amdhsa_user_sgpr_private_segment_size 0
		.amdhsa_uses_dynamic_stack 0
		.amdhsa_system_sgpr_private_segment_wavefront_offset 1
		.amdhsa_system_sgpr_workgroup_id_x 1
		.amdhsa_system_sgpr_workgroup_id_y 1
		.amdhsa_system_sgpr_workgroup_id_z 0
		.amdhsa_system_sgpr_workgroup_info 0
		.amdhsa_system_vgpr_workitem_id 1
		.amdhsa_next_free_vgpr 132
		.amdhsa_next_free_sgpr 100
		.amdhsa_accum_offset 76
		.amdhsa_reserve_vcc 1
		.amdhsa_reserve_flat_scratch 1
		.amdhsa_float_round_mode_32 0
		.amdhsa_float_round_mode_16_64 0
		.amdhsa_float_denorm_mode_32 3
		.amdhsa_float_denorm_mode_16_64 3
		.amdhsa_dx10_clamp 1
		.amdhsa_ieee_mode 1
		.amdhsa_fp16_overflow 0
		.amdhsa_tg_split 0
		.amdhsa_exception_fp_ieee_invalid_op 0
		.amdhsa_exception_fp_denorm_src 0
		.amdhsa_exception_fp_ieee_div_zero 0
		.amdhsa_exception_fp_ieee_overflow 0
		.amdhsa_exception_fp_ieee_underflow 0
		.amdhsa_exception_fp_ieee_inexact 0
		.amdhsa_exception_int_div_zero 0
	.end_amdhsa_kernel
	.text
.Lfunc_end1:
	.size	_Z13cuda_mat_J_PIPKdPKiiS0_PdS0_, .Lfunc_end1-_Z13cuda_mat_J_PIPKdPKiiS0_PdS0_
                                        ; -- End function
	.section	.AMDGPU.csdata,"",@progbits
; Kernel info:
; codeLenInByte = 2432
; NumSgprs: 106
; NumVgprs: 74
; NumAgprs: 56
; TotalNumVgprs: 132
; ScratchSize: 496
; MemoryBound: 0
; FloatMode: 240
; IeeeMode: 1
; LDSByteSize: 512 bytes/workgroup (compile time only)
; SGPRBlocks: 13
; VGPRBlocks: 16
; NumSGPRsForWavesPerEU: 106
; NumVGPRsForWavesPerEU: 132
; AccumOffset: 76
; Occupancy: 3
; WaveLimiterHint : 0
; COMPUTE_PGM_RSRC2:SCRATCH_EN: 1
; COMPUTE_PGM_RSRC2:USER_SGPR: 8
; COMPUTE_PGM_RSRC2:TRAP_HANDLER: 0
; COMPUTE_PGM_RSRC2:TGID_X_EN: 1
; COMPUTE_PGM_RSRC2:TGID_Y_EN: 1
; COMPUTE_PGM_RSRC2:TGID_Z_EN: 0
; COMPUTE_PGM_RSRC2:TIDIG_COMP_CNT: 1
; COMPUTE_PGM_RSRC3_GFX90A:ACCUM_OFFSET: 18
; COMPUTE_PGM_RSRC3_GFX90A:TG_SPLIT: 0
	.text
	.protected	_Z13cuda_mat_K_PIPKdPKiiS0_PdS0_ ; -- Begin function _Z13cuda_mat_K_PIPKdPKiiS0_PdS0_
	.globl	_Z13cuda_mat_K_PIPKdPKiiS0_PdS0_
	.p2align	8
	.type	_Z13cuda_mat_K_PIPKdPKiiS0_PdS0_,@function
_Z13cuda_mat_K_PIPKdPKiiS0_PdS0_:       ; @_Z13cuda_mat_K_PIPKdPKiiS0_PdS0_
; %bb.0:
	s_load_dword s11, s[4:5], 0x10
	s_add_u32 flat_scratch_lo, s6, s10
	s_addc_u32 flat_scratch_hi, s7, 0
	s_add_u32 s0, s0, s10
	s_addc_u32 s1, s1, 0
	s_mov_b32 s12, s8
	s_waitcnt lgkmcnt(0)
	s_cmp_ge_i32 s8, s11
	s_mov_b32 s8, s9
                                        ; implicit-def: $vgpr59 : SGPR spill to VGPR lane
	s_mov_b32 s10, s9
	v_writelane_b32 v59, s8, 0
	v_writelane_b32 v59, s9, 1
	s_mov_b32 s8, s12
	s_cselect_b64 s[6:7], -1, 0
	v_writelane_b32 v59, s8, 2
	s_cmp_gt_i32 s10, s12
	v_writelane_b32 v59, s9, 3
	s_cselect_b64 s[8:9], -1, 0
	s_or_b64 s[6:7], s[8:9], s[6:7]
	s_and_b64 vcc, exec, s[6:7]
	s_mov_b32 s32, 0
	s_cbranch_vccnz .LBB2_12
; %bb.1:
	s_load_dwordx2 s[6:7], s[4:5], 0x20
	v_and_b32_e32 v42, 0x3ff, v0
	v_lshlrev_b32_e32 v1, 3, v42
	v_bfe_u32 v43, v0, 10, 10
	v_mov_b32_e32 v47, 0
	s_waitcnt lgkmcnt(0)
	v_writelane_b32 v59, s6, 4
	v_add_lshl_u32 v44, v1, v43, 3
	v_mov_b32_e32 v46, v47
	v_writelane_b32 v59, s7, 5
	ds_write_b64 v44, v[46:47]
	v_cmp_gt_i32_e32 vcc, s11, v42
	s_mov_b64 s[6:7], exec
	v_writelane_b32 v59, s6, 6
	v_writelane_b32 v59, s7, 7
	s_and_b64 s[6:7], s[6:7], vcc
	s_mov_b64 exec, s[6:7]
	s_cbranch_execz .LBB2_10
; %bb.2:
	s_load_dwordx4 s[12:15], s[4:5], 0x0
	s_load_dwordx2 s[16:17], s[4:5], 0x18
	s_load_dwordx2 s[18:19], s[4:5], 0x28
	v_readlane_b32 s4, v59, 2
	v_readlane_b32 s5, v59, 3
	s_mov_b32 s6, s4
	s_lshl_b32 s4, s4, 3
	s_ashr_i32 s5, s4, 31
	s_lshl_b64 s[4:5], s[4:5], 3
	s_waitcnt lgkmcnt(0)
	s_add_u32 s4, s12, s4
	v_writelane_b32 v59, s4, 8
	s_addc_u32 s4, s13, s5
	v_writelane_b32 v59, s4, 9
	v_readlane_b32 s4, v59, 0
	v_readlane_b32 s5, v59, 1
	s_mov_b32 s8, s4
	s_lshl_b32 s4, s4, 3
	s_ashr_i32 s5, s4, 31
	s_lshl_b64 s[4:5], s[4:5], 3
	s_add_u32 s4, s12, s4
	v_writelane_b32 v59, s4, 10
	s_addc_u32 s4, s13, s5
	v_writelane_b32 v59, s4, 11
	s_mov_b32 s4, s6
	s_ashr_i32 s7, s6, 31
	v_writelane_b32 v59, s4, 2
	v_writelane_b32 v59, s5, 3
	s_lshl_b64 s[4:5], s[6:7], 2
	s_add_u32 s4, s14, s4
	s_mov_b32 s6, s8
	s_addc_u32 s5, s15, s5
	s_ashr_i32 s9, s8, 31
	v_writelane_b32 v59, s6, 0
	v_writelane_b32 v59, s7, 1
	s_lshl_b64 s[6:7], s[8:9], 2
	s_load_dword s8, s[4:5], 0x0
	s_add_u32 s6, s14, s6
	s_addc_u32 s7, s15, s7
	s_load_dword s33, s[6:7], 0x0
                                        ; kill: killed $sgpr4 killed $sgpr5
                                        ; kill: killed $sgpr6 killed $sgpr7
	s_mov_b64 s[4:5], s[12:13]
	s_waitcnt lgkmcnt(0)
	v_writelane_b32 v59, s8, 12
	s_mov_b32 s6, s14
	v_writelane_b32 v59, s4, 13
	v_writelane_b32 v59, s5, 14
	;; [unrolled: 1-line block ×7, first 2 shown]
	v_lshlrev_b32_e32 v0, 2, v43
	v_writelane_b32 v59, s19, 20
	v_cmp_gt_u32_e64 s[8:9], s11, v43
	v_mov_b32_e32 v45, s15
	v_add_co_u32_e32 v64, vcc, s14, v0
	s_mov_b32 s12, 0x97d889bc
	v_writelane_b32 v59, s11, 21
	v_addc_co_u32_e32 v65, vcc, 0, v45, vcc
	v_lshlrev_b32_e32 v56, 3, v43
	s_mov_b64 s[4:5], 0
	v_pk_mov_b32 v[66:67], 0, 0
	s_mov_b32 s13, 0x3c9cd2b2
	v_mov_b32_e32 v68, v42
	v_writelane_b32 v59, s8, 22
	v_writelane_b32 v59, s9, 23
	s_branch .LBB2_5
.LBB2_3:                                ;   in Loop: Header=BB2_5 Depth=1
	s_or_b64 exec, exec, s[6:7]
	v_readlane_b32 s8, v59, 22
	v_readlane_b32 s9, v59, 23
.LBB2_4:                                ;   in Loop: Header=BB2_5 Depth=1
	v_readlane_b32 s4, v59, 26
	v_readlane_b32 s5, v59, 27
	s_or_b64 exec, exec, s[4:5]
	v_readlane_b32 s4, v59, 24
	v_add_u32_e32 v68, 8, v68
	v_readlane_b32 s5, v59, 25
	v_cmp_le_i32_e32 vcc, s11, v68
	s_or_b64 s[4:5], vcc, s[4:5]
	s_andn2_b64 exec, exec, s[4:5]
	s_cbranch_execz .LBB2_10
.LBB2_5:                                ; =>This Loop Header: Depth=1
                                        ;     Child Loop BB2_8 Depth 2
	v_writelane_b32 v59, s4, 24
	v_writelane_b32 v59, s5, 25
	s_mov_b64 s[4:5], exec
	v_writelane_b32 v59, s4, 26
	v_writelane_b32 v59, s5, 27
	s_and_b64 s[4:5], s[4:5], s[8:9]
	s_mov_b64 exec, s[4:5]
	s_cbranch_execz .LBB2_4
; %bb.6:                                ;   in Loop: Header=BB2_5 Depth=1
	v_readlane_b32 s4, v59, 13
	v_mov_b32_e32 v69, v47
	v_readlane_b32 s6, v59, 15
	v_lshlrev_b64 v[0:1], 2, v[68:69]
	v_readlane_b32 s5, v59, 14
	s_mov_b32 s10, s6
	v_add_co_u32_e32 v0, vcc, s10, v0
	v_addc_co_u32_e32 v1, vcc, v45, v1, vcc
	global_load_dword v57, v[0:1], off
	s_mov_b64 s[8:9], s[4:5]
	v_readlane_b32 s4, v59, 12
	v_mov_b32_e32 v2, s19
	v_lshlrev_b32_e32 v46, 3, v68
	v_readlane_b32 s7, v59, 16
	s_mov_b64 s[6:7], 0
	v_pk_mov_b32 v[72:73], v[64:65], v[64:65] op_sel:[0,1]
	v_mov_b32_e32 v58, v43
	s_waitcnt vmcnt(0)
	v_max_i32_e32 v0, s4, v57
	v_min_i32_e32 v3, s4, v57
	v_mad_u64_u32 v[0:1], s[4:5], v0, v0, v[0:1]
	v_lshrrev_b32_e32 v1, 31, v0
	v_add_u32_e32 v0, v0, v1
	v_ashrrev_i32_e32 v0, 1, v0
	v_add_u32_e32 v0, v0, v3
	v_ashrrev_i32_e32 v1, 31, v0
	v_lshlrev_b64 v[0:1], 3, v[0:1]
	v_add_co_u32_e32 v0, vcc, s18, v0
	v_addc_co_u32_e32 v1, vcc, v2, v1, vcc
	global_load_dwordx2 v[70:71], v[0:1], off
	v_lshlrev_b64 v[0:1], 3, v[46:47]
	v_mov_b32_e32 v2, s9
	v_add_co_u32_e32 v40, vcc, s8, v0
	v_addc_co_u32_e32 v41, vcc, v2, v1, vcc
	v_mov_b32_e32 v46, v56
	s_branch .LBB2_8
.LBB2_7:                                ;   in Loop: Header=BB2_8 Depth=2
	s_or_b64 exec, exec, s[8:9]
	v_add_co_u32_e32 v72, vcc, 32, v72
	v_add_u32_e32 v58, 8, v58
	v_addc_co_u32_e32 v73, vcc, 0, v73, vcc
	v_cmp_le_i32_e32 vcc, s11, v58
	s_or_b64 s[6:7], vcc, s[6:7]
	v_add_u32_e32 v46, 64, v46
	s_andn2_b64 exec, exec, s[6:7]
	s_cbranch_execz .LBB2_3
.LBB2_8:                                ;   Parent Loop BB2_5 Depth=1
                                        ; =>  This Inner Loop Header: Depth=2
	global_load_dword v1, v[72:73], off
	v_mov_b32_e32 v4, s19
	v_mov_b32_e32 v5, s17
	s_waitcnt vmcnt(0)
	v_max_i32_e32 v0, s33, v1
	v_min_i32_e32 v6, s33, v1
	v_min_i32_e32 v7, v57, v1
	v_max_i32_e32 v2, v57, v1
	v_mad_u64_u32 v[0:1], s[4:5], v0, v0, v[0:1]
	v_mad_u64_u32 v[2:3], s[4:5], v2, v2, v[2:3]
	v_lshrrev_b32_e32 v1, 31, v0
	v_lshrrev_b32_e32 v3, 31, v2
	v_add_u32_e32 v0, v0, v1
	v_add_u32_e32 v1, v2, v3
	v_ashrrev_i32_e32 v0, 1, v0
	v_ashrrev_i32_e32 v1, 1, v1
	v_add_u32_e32 v0, v0, v6
	v_add_u32_e32 v2, v1, v7
	v_ashrrev_i32_e32 v1, 31, v0
	v_lshlrev_b64 v[0:1], 3, v[0:1]
	v_ashrrev_i32_e32 v3, 31, v2
	v_add_co_u32_e32 v0, vcc, s18, v0
	v_lshlrev_b64 v[2:3], 3, v[2:3]
	v_addc_co_u32_e32 v1, vcc, v4, v1, vcc
	v_add_co_u32_e32 v2, vcc, s16, v2
	global_load_dwordx2 v[0:1], v[0:1], off
	v_addc_co_u32_e32 v3, vcc, v5, v3, vcc
	global_load_dwordx2 v[74:75], v[2:3], off
	s_waitcnt vmcnt(1)
	v_mul_f64 v[0:1], v[70:71], v[0:1]
	s_waitcnt vmcnt(0)
	v_mul_f64 v[0:1], v[0:1], v[74:75]
	v_cmp_nlt_f64_e64 s[4:5], |v[0:1]|, s[12:13]
	s_and_saveexec_b64 s[8:9], s[4:5]
	s_cbranch_execz .LBB2_7
; %bb.9:                                ;   in Loop: Header=BB2_8 Depth=2
	v_writelane_b32 v59, s6, 28
	v_writelane_b32 v59, s7, 29
	v_readlane_b32 s4, v59, 13
	v_readlane_b32 s6, v59, 15
	v_lshlrev_b64 v[0:1], 3, v[46:47]
	v_readlane_b32 s5, v59, 14
	v_readlane_b32 s6, v59, 8
	v_mov_b32_e32 v2, s5
	v_add_co_u32_e32 v6, vcc, s4, v0
	v_mov_b32_e32 v0, s6
	v_readlane_b32 s6, v59, 9
	v_addc_co_u32_e32 v7, vcc, v2, v1, vcc
	v_mov_b32_e32 v1, s6
	v_readlane_b32 s6, v59, 10
	v_mov_b32_e32 v4, s6
	v_readlane_b32 s6, v59, 11
	v_readlane_b32 s7, v59, 16
	v_mov_b32_e32 v2, v40
	v_mov_b32_e32 v3, v41
	;; [unrolled: 1-line block ×3, first 2 shown]
	v_writelane_b32 v59, s8, 30
	s_getpc_b64 s[4:5]
	s_add_u32 s4, s4, _Z12cuda_rys_pbfPKdS0_S0_S0_@rel32@lo+4
	s_addc_u32 s5, s5, _Z12cuda_rys_pbfPKdS0_S0_S0_@rel32@hi+12
	v_writelane_b32 v59, s9, 31
	s_swappc_b64 s[30:31], s[4:5]
	v_readlane_b32 s8, v59, 30
	v_readlane_b32 s6, v59, 28
	s_mov_b32 s12, 0x97d889bc
	v_readlane_b32 s18, v59, 19
	v_readlane_b32 s16, v59, 17
	v_cvt_f64_f32_e32 v[0:1], v0
	v_readlane_b32 s9, v59, 31
	v_readlane_b32 s7, v59, 29
	s_mov_b32 s13, 0x3c9cd2b2
	v_readlane_b32 s19, v59, 20
	v_readlane_b32 s17, v59, 18
	;; [unrolled: 1-line block ×3, first 2 shown]
	v_fmac_f64_e32 v[66:67], v[74:75], v[0:1]
	ds_write_b64 v44, v[66:67]
	s_branch .LBB2_7
.LBB2_10:
	v_readlane_b32 s4, v59, 6
	v_readlane_b32 s5, v59, 7
	s_or_b64 exec, exec, s[4:5]
	v_or_b32_e32 v0, v42, v43
	v_cmp_eq_u32_e32 vcc, 0, v0
	s_waitcnt lgkmcnt(0)
	s_barrier
	s_and_saveexec_b64 s[4:5], vcc
	s_cbranch_execz .LBB2_12
; %bb.11:
	v_mov_b32_e32 v0, 0
	ds_read_b128 v[2:5], v0
	ds_read_b128 v[6:9], v0 offset:16
	ds_read_b128 v[10:13], v0 offset:32
	;; [unrolled: 1-line block ×3, first 2 shown]
	v_readlane_b32 s4, v59, 2
	s_mov_b32 s6, s4
	s_add_i32 s4, s4, 1
	s_waitcnt lgkmcnt(3)
	v_add_f64 v[2:3], v[2:3], 0
	v_add_f64 v[2:3], v[4:5], v[2:3]
	s_waitcnt lgkmcnt(2)
	v_add_f64 v[2:3], v[6:7], v[2:3]
	v_add_f64 v[2:3], v[8:9], v[2:3]
	s_waitcnt lgkmcnt(1)
	v_add_f64 v[6:7], v[10:11], v[2:3]
	ds_read_b128 v[2:5], v0 offset:64
	v_add_f64 v[6:7], v[12:13], v[6:7]
	s_waitcnt lgkmcnt(1)
	v_add_f64 v[10:11], v[14:15], v[6:7]
	ds_read_b128 v[6:9], v0 offset:80
	;; [unrolled: 4-line block ×25, first 2 shown]
	v_add_f64 v[6:7], v[8:9], v[6:7]
	s_waitcnt lgkmcnt(1)
	v_add_f64 v[6:7], v[10:11], v[6:7]
	v_add_f64 v[10:11], v[12:13], v[6:7]
	ds_read_b128 v[6:9], v0 offset:464
	v_readlane_b32 s5, v59, 3
	s_mul_i32 s4, s4, s6
	s_waitcnt lgkmcnt(1)
	v_add_f64 v[2:3], v[2:3], v[10:11]
	ds_read_b128 v[10:13], v0 offset:480
	s_lshr_b32 s5, s4, 31
	s_add_i32 s4, s4, s5
	v_add_f64 v[14:15], v[4:5], v[2:3]
	ds_read_b128 v[2:5], v0 offset:496
	s_ashr_i32 s4, s4, 1
	v_readlane_b32 s6, v59, 0
	s_waitcnt lgkmcnt(2)
	v_add_f64 v[6:7], v[6:7], v[14:15]
	s_add_i32 s4, s4, s6
	v_add_f64 v[6:7], v[8:9], v[6:7]
	v_readlane_b32 s7, v59, 1
	s_ashr_i32 s5, s4, 31
	s_waitcnt lgkmcnt(1)
	v_add_f64 v[6:7], v[10:11], v[6:7]
	s_lshl_b64 s[4:5], s[4:5], 3
	v_readlane_b32 s6, v59, 4
	v_add_f64 v[6:7], v[12:13], v[6:7]
	v_readlane_b32 s7, v59, 5
	s_add_u32 s4, s6, s4
	s_waitcnt lgkmcnt(0)
	v_add_f64 v[2:3], v[2:3], v[6:7]
	s_addc_u32 s5, s7, s5
	v_add_f64 v[2:3], v[4:5], v[2:3]
	global_store_dwordx2 v0, v[2:3], s[4:5]
.LBB2_12:
	s_endpgm
	.section	.rodata,"a",@progbits
	.p2align	6, 0x0
	.amdhsa_kernel _Z13cuda_mat_K_PIPKdPKiiS0_PdS0_
		.amdhsa_group_segment_fixed_size 512
		.amdhsa_private_segment_fixed_size 496
		.amdhsa_kernarg_size 48
		.amdhsa_user_sgpr_count 8
		.amdhsa_user_sgpr_private_segment_buffer 1
		.amdhsa_user_sgpr_dispatch_ptr 0
		.amdhsa_user_sgpr_queue_ptr 0
		.amdhsa_user_sgpr_kernarg_segment_ptr 1
		.amdhsa_user_sgpr_dispatch_id 0
		.amdhsa_user_sgpr_flat_scratch_init 1
		.amdhsa_user_sgpr_kernarg_preload_length 0
		.amdhsa_user_sgpr_kernarg_preload_offset 0
		.amdhsa_user_sgpr_private_segment_size 0
		.amdhsa_uses_dynamic_stack 0
		.amdhsa_system_sgpr_private_segment_wavefront_offset 1
		.amdhsa_system_sgpr_workgroup_id_x 1
		.amdhsa_system_sgpr_workgroup_id_y 1
		.amdhsa_system_sgpr_workgroup_id_z 0
		.amdhsa_system_sgpr_workgroup_info 0
		.amdhsa_system_vgpr_workitem_id 1
		.amdhsa_next_free_vgpr 132
		.amdhsa_next_free_sgpr 100
		.amdhsa_accum_offset 76
		.amdhsa_reserve_vcc 1
		.amdhsa_reserve_flat_scratch 1
		.amdhsa_float_round_mode_32 0
		.amdhsa_float_round_mode_16_64 0
		.amdhsa_float_denorm_mode_32 3
		.amdhsa_float_denorm_mode_16_64 3
		.amdhsa_dx10_clamp 1
		.amdhsa_ieee_mode 1
		.amdhsa_fp16_overflow 0
		.amdhsa_tg_split 0
		.amdhsa_exception_fp_ieee_invalid_op 0
		.amdhsa_exception_fp_denorm_src 0
		.amdhsa_exception_fp_ieee_div_zero 0
		.amdhsa_exception_fp_ieee_overflow 0
		.amdhsa_exception_fp_ieee_underflow 0
		.amdhsa_exception_fp_ieee_inexact 0
		.amdhsa_exception_int_div_zero 0
	.end_amdhsa_kernel
	.text
.Lfunc_end2:
	.size	_Z13cuda_mat_K_PIPKdPKiiS0_PdS0_, .Lfunc_end2-_Z13cuda_mat_K_PIPKdPKiiS0_PdS0_
                                        ; -- End function
	.section	.AMDGPU.csdata,"",@progbits
; Kernel info:
; codeLenInByte = 2468
; NumSgprs: 106
; NumVgprs: 76
; NumAgprs: 56
; TotalNumVgprs: 132
; ScratchSize: 496
; MemoryBound: 0
; FloatMode: 240
; IeeeMode: 1
; LDSByteSize: 512 bytes/workgroup (compile time only)
; SGPRBlocks: 13
; VGPRBlocks: 16
; NumSGPRsForWavesPerEU: 106
; NumVGPRsForWavesPerEU: 132
; AccumOffset: 76
; Occupancy: 3
; WaveLimiterHint : 0
; COMPUTE_PGM_RSRC2:SCRATCH_EN: 1
; COMPUTE_PGM_RSRC2:USER_SGPR: 8
; COMPUTE_PGM_RSRC2:TRAP_HANDLER: 0
; COMPUTE_PGM_RSRC2:TGID_X_EN: 1
; COMPUTE_PGM_RSRC2:TGID_Y_EN: 1
; COMPUTE_PGM_RSRC2:TGID_Z_EN: 0
; COMPUTE_PGM_RSRC2:TIDIG_COMP_CNT: 1
; COMPUTE_PGM_RSRC3_GFX90A:ACCUM_OFFSET: 18
; COMPUTE_PGM_RSRC3_GFX90A:TG_SPLIT: 0
	.text
	.p2alignl 6, 3212836864
	.fill 256, 4, 3212836864
	.type	__hip_cuid_cc94d057e6daf7c7,@object ; @__hip_cuid_cc94d057e6daf7c7
	.section	.bss,"aw",@nobits
	.globl	__hip_cuid_cc94d057e6daf7c7
__hip_cuid_cc94d057e6daf7c7:
	.byte	0                               ; 0x0
	.size	__hip_cuid_cc94d057e6daf7c7, 1

	.ident	"AMD clang version 19.0.0git (https://github.com/RadeonOpenCompute/llvm-project roc-6.4.0 25133 c7fe45cf4b819c5991fe208aaa96edf142730f1d)"
	.section	".note.GNU-stack","",@progbits
	.addrsig
	.addrsig_sym __hip_cuid_cc94d057e6daf7c7
	.amdgpu_metadata
---
amdhsa.kernels:
  - .agpr_count:     56
    .args:
      - .actual_access:  read_only
        .address_space:  global
        .offset:         0
        .size:           8
        .value_kind:     global_buffer
      - .actual_access:  read_only
        .address_space:  global
        .offset:         8
        .size:           8
        .value_kind:     global_buffer
      - .offset:         16
        .size:           4
        .value_kind:     by_value
      - .actual_access:  read_only
        .address_space:  global
        .offset:         24
        .size:           8
        .value_kind:     global_buffer
      - .actual_access:  write_only
        .address_space:  global
        .offset:         32
        .size:           8
        .value_kind:     global_buffer
      - .actual_access:  read_only
        .address_space:  global
        .offset:         40
        .size:           8
        .value_kind:     global_buffer
    .group_segment_fixed_size: 512
    .kernarg_segment_align: 8
    .kernarg_segment_size: 48
    .language:       OpenCL C
    .language_version:
      - 2
      - 0
    .max_flat_workgroup_size: 1024
    .name:           _Z13cuda_mat_J_PIPKdPKiiS0_PdS0_
    .private_segment_fixed_size: 496
    .sgpr_count:     106
    .sgpr_spill_count: 36
    .symbol:         _Z13cuda_mat_J_PIPKdPKiiS0_PdS0_.kd
    .uniform_work_group_size: 1
    .uses_dynamic_stack: false
    .vgpr_count:     132
    .vgpr_spill_count: 0
    .wavefront_size: 64
  - .agpr_count:     56
    .args:
      - .actual_access:  read_only
        .address_space:  global
        .offset:         0
        .size:           8
        .value_kind:     global_buffer
      - .actual_access:  read_only
        .address_space:  global
        .offset:         8
        .size:           8
        .value_kind:     global_buffer
      - .offset:         16
        .size:           4
        .value_kind:     by_value
      - .actual_access:  read_only
        .address_space:  global
        .offset:         24
        .size:           8
        .value_kind:     global_buffer
      - .actual_access:  write_only
        .address_space:  global
        .offset:         32
        .size:           8
        .value_kind:     global_buffer
      - .actual_access:  read_only
        .address_space:  global
        .offset:         40
        .size:           8
        .value_kind:     global_buffer
    .group_segment_fixed_size: 512
    .kernarg_segment_align: 8
    .kernarg_segment_size: 48
    .language:       OpenCL C
    .language_version:
      - 2
      - 0
    .max_flat_workgroup_size: 1024
    .name:           _Z13cuda_mat_K_PIPKdPKiiS0_PdS0_
    .private_segment_fixed_size: 496
    .sgpr_count:     106
    .sgpr_spill_count: 36
    .symbol:         _Z13cuda_mat_K_PIPKdPKiiS0_PdS0_.kd
    .uniform_work_group_size: 1
    .uses_dynamic_stack: false
    .vgpr_count:     132
    .vgpr_spill_count: 0
    .wavefront_size: 64
amdhsa.target:   amdgcn-amd-amdhsa--gfx90a
amdhsa.version:
  - 1
  - 2
...

	.end_amdgpu_metadata
